;; amdgpu-corpus repo=ROCm/rocFFT kind=compiled arch=gfx1201 opt=O3
	.text
	.amdgcn_target "amdgcn-amd-amdhsa--gfx1201"
	.amdhsa_code_object_version 6
	.protected	fft_rtc_back_len1092_factors_2_2_13_7_3_wgs_52_tpt_52_halfLds_sp_ip_CI_sbrr_dirReg ; -- Begin function fft_rtc_back_len1092_factors_2_2_13_7_3_wgs_52_tpt_52_halfLds_sp_ip_CI_sbrr_dirReg
	.globl	fft_rtc_back_len1092_factors_2_2_13_7_3_wgs_52_tpt_52_halfLds_sp_ip_CI_sbrr_dirReg
	.p2align	8
	.type	fft_rtc_back_len1092_factors_2_2_13_7_3_wgs_52_tpt_52_halfLds_sp_ip_CI_sbrr_dirReg,@function
fft_rtc_back_len1092_factors_2_2_13_7_3_wgs_52_tpt_52_halfLds_sp_ip_CI_sbrr_dirReg: ; @fft_rtc_back_len1092_factors_2_2_13_7_3_wgs_52_tpt_52_halfLds_sp_ip_CI_sbrr_dirReg
; %bb.0:
	s_clause 0x2
	s_load_b64 s[12:13], s[0:1], 0x18
	s_load_b128 s[4:7], s[0:1], 0x0
	s_load_b64 s[10:11], s[0:1], 0x50
	v_mul_u32_u24_e32 v1, 0x4ed, v0
	v_mov_b32_e32 v3, 0
	s_delay_alu instid0(VALU_DEP_2) | instskip(NEXT) | instid1(VALU_DEP_1)
	v_lshrrev_b32_e32 v1, 16, v1
	v_add_nc_u32_e32 v5, ttmp9, v1
	v_mov_b32_e32 v1, 0
	v_mov_b32_e32 v2, 0
	;; [unrolled: 1-line block ×3, first 2 shown]
	s_wait_kmcnt 0x0
	s_load_b64 s[8:9], s[12:13], 0x0
	v_cmp_lt_u64_e64 s2, s[6:7], 2
	s_delay_alu instid0(VALU_DEP_1)
	s_and_b32 vcc_lo, exec_lo, s2
	s_cbranch_vccnz .LBB0_8
; %bb.1:
	s_load_b64 s[2:3], s[0:1], 0x10
	v_mov_b32_e32 v1, 0
	v_mov_b32_e32 v2, 0
	s_add_nc_u64 s[14:15], s[12:13], 8
	s_mov_b64 s[16:17], 1
	s_wait_kmcnt 0x0
	s_add_nc_u64 s[18:19], s[2:3], 8
	s_mov_b32 s3, 0
.LBB0_2:                                ; =>This Inner Loop Header: Depth=1
	s_load_b64 s[20:21], s[18:19], 0x0
                                        ; implicit-def: $vgpr7_vgpr8
	s_mov_b32 s2, exec_lo
	s_wait_kmcnt 0x0
	v_or_b32_e32 v4, s21, v6
	s_delay_alu instid0(VALU_DEP_1)
	v_cmpx_ne_u64_e32 0, v[3:4]
	s_wait_alu 0xfffe
	s_xor_b32 s22, exec_lo, s2
	s_cbranch_execz .LBB0_4
; %bb.3:                                ;   in Loop: Header=BB0_2 Depth=1
	s_cvt_f32_u32 s2, s20
	s_cvt_f32_u32 s23, s21
	s_sub_nc_u64 s[26:27], 0, s[20:21]
	s_wait_alu 0xfffe
	s_delay_alu instid0(SALU_CYCLE_1) | instskip(SKIP_1) | instid1(SALU_CYCLE_2)
	s_fmamk_f32 s2, s23, 0x4f800000, s2
	s_wait_alu 0xfffe
	v_s_rcp_f32 s2, s2
	s_delay_alu instid0(TRANS32_DEP_1) | instskip(SKIP_1) | instid1(SALU_CYCLE_2)
	s_mul_f32 s2, s2, 0x5f7ffffc
	s_wait_alu 0xfffe
	s_mul_f32 s23, s2, 0x2f800000
	s_wait_alu 0xfffe
	s_delay_alu instid0(SALU_CYCLE_2) | instskip(SKIP_1) | instid1(SALU_CYCLE_2)
	s_trunc_f32 s23, s23
	s_wait_alu 0xfffe
	s_fmamk_f32 s2, s23, 0xcf800000, s2
	s_cvt_u32_f32 s25, s23
	s_wait_alu 0xfffe
	s_delay_alu instid0(SALU_CYCLE_1) | instskip(SKIP_1) | instid1(SALU_CYCLE_2)
	s_cvt_u32_f32 s24, s2
	s_wait_alu 0xfffe
	s_mul_u64 s[28:29], s[26:27], s[24:25]
	s_wait_alu 0xfffe
	s_mul_hi_u32 s31, s24, s29
	s_mul_i32 s30, s24, s29
	s_mul_hi_u32 s2, s24, s28
	s_mul_i32 s33, s25, s28
	s_wait_alu 0xfffe
	s_add_nc_u64 s[30:31], s[2:3], s[30:31]
	s_mul_hi_u32 s23, s25, s28
	s_mul_hi_u32 s34, s25, s29
	s_add_co_u32 s2, s30, s33
	s_wait_alu 0xfffe
	s_add_co_ci_u32 s2, s31, s23
	s_mul_i32 s28, s25, s29
	s_add_co_ci_u32 s29, s34, 0
	s_wait_alu 0xfffe
	s_add_nc_u64 s[28:29], s[2:3], s[28:29]
	s_wait_alu 0xfffe
	v_add_co_u32 v4, s2, s24, s28
	s_delay_alu instid0(VALU_DEP_1) | instskip(SKIP_1) | instid1(VALU_DEP_1)
	s_cmp_lg_u32 s2, 0
	s_add_co_ci_u32 s25, s25, s29
	v_readfirstlane_b32 s24, v4
	s_wait_alu 0xfffe
	s_delay_alu instid0(VALU_DEP_1)
	s_mul_u64 s[26:27], s[26:27], s[24:25]
	s_wait_alu 0xfffe
	s_mul_hi_u32 s29, s24, s27
	s_mul_i32 s28, s24, s27
	s_mul_hi_u32 s2, s24, s26
	s_mul_i32 s30, s25, s26
	s_wait_alu 0xfffe
	s_add_nc_u64 s[28:29], s[2:3], s[28:29]
	s_mul_hi_u32 s23, s25, s26
	s_mul_hi_u32 s24, s25, s27
	s_wait_alu 0xfffe
	s_add_co_u32 s2, s28, s30
	s_add_co_ci_u32 s2, s29, s23
	s_mul_i32 s26, s25, s27
	s_add_co_ci_u32 s27, s24, 0
	s_wait_alu 0xfffe
	s_add_nc_u64 s[26:27], s[2:3], s[26:27]
	s_wait_alu 0xfffe
	v_add_co_u32 v4, s2, v4, s26
	s_delay_alu instid0(VALU_DEP_1) | instskip(SKIP_1) | instid1(VALU_DEP_1)
	s_cmp_lg_u32 s2, 0
	s_add_co_ci_u32 s2, s25, s27
	v_mul_hi_u32 v13, v5, v4
	s_wait_alu 0xfffe
	v_mad_co_u64_u32 v[7:8], null, v5, s2, 0
	v_mad_co_u64_u32 v[9:10], null, v6, v4, 0
	;; [unrolled: 1-line block ×3, first 2 shown]
	s_delay_alu instid0(VALU_DEP_3) | instskip(SKIP_1) | instid1(VALU_DEP_4)
	v_add_co_u32 v4, vcc_lo, v13, v7
	s_wait_alu 0xfffd
	v_add_co_ci_u32_e32 v7, vcc_lo, 0, v8, vcc_lo
	s_delay_alu instid0(VALU_DEP_2) | instskip(SKIP_1) | instid1(VALU_DEP_2)
	v_add_co_u32 v4, vcc_lo, v4, v9
	s_wait_alu 0xfffd
	v_add_co_ci_u32_e32 v4, vcc_lo, v7, v10, vcc_lo
	s_wait_alu 0xfffd
	v_add_co_ci_u32_e32 v7, vcc_lo, 0, v12, vcc_lo
	s_delay_alu instid0(VALU_DEP_2) | instskip(SKIP_1) | instid1(VALU_DEP_2)
	v_add_co_u32 v4, vcc_lo, v4, v11
	s_wait_alu 0xfffd
	v_add_co_ci_u32_e32 v9, vcc_lo, 0, v7, vcc_lo
	s_delay_alu instid0(VALU_DEP_2) | instskip(SKIP_1) | instid1(VALU_DEP_3)
	v_mul_lo_u32 v10, s21, v4
	v_mad_co_u64_u32 v[7:8], null, s20, v4, 0
	v_mul_lo_u32 v11, s20, v9
	s_delay_alu instid0(VALU_DEP_2) | instskip(NEXT) | instid1(VALU_DEP_2)
	v_sub_co_u32 v7, vcc_lo, v5, v7
	v_add3_u32 v8, v8, v11, v10
	s_delay_alu instid0(VALU_DEP_1) | instskip(SKIP_1) | instid1(VALU_DEP_1)
	v_sub_nc_u32_e32 v10, v6, v8
	s_wait_alu 0xfffd
	v_subrev_co_ci_u32_e64 v10, s2, s21, v10, vcc_lo
	v_add_co_u32 v11, s2, v4, 2
	s_wait_alu 0xf1ff
	v_add_co_ci_u32_e64 v12, s2, 0, v9, s2
	v_sub_co_u32 v13, s2, v7, s20
	v_sub_co_ci_u32_e32 v8, vcc_lo, v6, v8, vcc_lo
	s_wait_alu 0xf1ff
	v_subrev_co_ci_u32_e64 v10, s2, 0, v10, s2
	s_delay_alu instid0(VALU_DEP_3) | instskip(NEXT) | instid1(VALU_DEP_3)
	v_cmp_le_u32_e32 vcc_lo, s20, v13
	v_cmp_eq_u32_e64 s2, s21, v8
	s_wait_alu 0xfffd
	v_cndmask_b32_e64 v13, 0, -1, vcc_lo
	v_cmp_le_u32_e32 vcc_lo, s21, v10
	s_wait_alu 0xfffd
	v_cndmask_b32_e64 v14, 0, -1, vcc_lo
	v_cmp_le_u32_e32 vcc_lo, s20, v7
	;; [unrolled: 3-line block ×3, first 2 shown]
	s_wait_alu 0xfffd
	v_cndmask_b32_e64 v15, 0, -1, vcc_lo
	v_cmp_eq_u32_e32 vcc_lo, s21, v10
	s_wait_alu 0xf1ff
	s_delay_alu instid0(VALU_DEP_2)
	v_cndmask_b32_e64 v7, v15, v7, s2
	s_wait_alu 0xfffd
	v_cndmask_b32_e32 v10, v14, v13, vcc_lo
	v_add_co_u32 v13, vcc_lo, v4, 1
	s_wait_alu 0xfffd
	v_add_co_ci_u32_e32 v14, vcc_lo, 0, v9, vcc_lo
	s_delay_alu instid0(VALU_DEP_3) | instskip(SKIP_2) | instid1(VALU_DEP_3)
	v_cmp_ne_u32_e32 vcc_lo, 0, v10
	s_wait_alu 0xfffd
	v_cndmask_b32_e32 v10, v13, v11, vcc_lo
	v_cndmask_b32_e32 v8, v14, v12, vcc_lo
	v_cmp_ne_u32_e32 vcc_lo, 0, v7
	s_wait_alu 0xfffd
	s_delay_alu instid0(VALU_DEP_2)
	v_dual_cndmask_b32 v7, v4, v10 :: v_dual_cndmask_b32 v8, v9, v8
.LBB0_4:                                ;   in Loop: Header=BB0_2 Depth=1
	s_wait_alu 0xfffe
	s_and_not1_saveexec_b32 s2, s22
	s_cbranch_execz .LBB0_6
; %bb.5:                                ;   in Loop: Header=BB0_2 Depth=1
	v_cvt_f32_u32_e32 v4, s20
	s_sub_co_i32 s22, 0, s20
	s_delay_alu instid0(VALU_DEP_1) | instskip(NEXT) | instid1(TRANS32_DEP_1)
	v_rcp_iflag_f32_e32 v4, v4
	v_mul_f32_e32 v4, 0x4f7ffffe, v4
	s_delay_alu instid0(VALU_DEP_1) | instskip(SKIP_1) | instid1(VALU_DEP_1)
	v_cvt_u32_f32_e32 v4, v4
	s_wait_alu 0xfffe
	v_mul_lo_u32 v7, s22, v4
	s_delay_alu instid0(VALU_DEP_1) | instskip(NEXT) | instid1(VALU_DEP_1)
	v_mul_hi_u32 v7, v4, v7
	v_add_nc_u32_e32 v4, v4, v7
	s_delay_alu instid0(VALU_DEP_1) | instskip(NEXT) | instid1(VALU_DEP_1)
	v_mul_hi_u32 v4, v5, v4
	v_mul_lo_u32 v7, v4, s20
	v_add_nc_u32_e32 v8, 1, v4
	s_delay_alu instid0(VALU_DEP_2) | instskip(NEXT) | instid1(VALU_DEP_1)
	v_sub_nc_u32_e32 v7, v5, v7
	v_subrev_nc_u32_e32 v9, s20, v7
	v_cmp_le_u32_e32 vcc_lo, s20, v7
	s_wait_alu 0xfffd
	s_delay_alu instid0(VALU_DEP_2) | instskip(NEXT) | instid1(VALU_DEP_1)
	v_dual_cndmask_b32 v7, v7, v9 :: v_dual_cndmask_b32 v4, v4, v8
	v_cmp_le_u32_e32 vcc_lo, s20, v7
	s_delay_alu instid0(VALU_DEP_2) | instskip(SKIP_1) | instid1(VALU_DEP_1)
	v_add_nc_u32_e32 v8, 1, v4
	s_wait_alu 0xfffd
	v_dual_cndmask_b32 v7, v4, v8 :: v_dual_mov_b32 v8, v3
.LBB0_6:                                ;   in Loop: Header=BB0_2 Depth=1
	s_wait_alu 0xfffe
	s_or_b32 exec_lo, exec_lo, s2
	s_load_b64 s[22:23], s[14:15], 0x0
	s_delay_alu instid0(VALU_DEP_1)
	v_mul_lo_u32 v4, v8, s20
	v_mul_lo_u32 v11, v7, s21
	v_mad_co_u64_u32 v[9:10], null, v7, s20, 0
	s_add_nc_u64 s[16:17], s[16:17], 1
	s_add_nc_u64 s[14:15], s[14:15], 8
	s_wait_alu 0xfffe
	v_cmp_ge_u64_e64 s2, s[16:17], s[6:7]
	s_add_nc_u64 s[18:19], s[18:19], 8
	s_delay_alu instid0(VALU_DEP_2) | instskip(NEXT) | instid1(VALU_DEP_3)
	v_add3_u32 v4, v10, v11, v4
	v_sub_co_u32 v5, vcc_lo, v5, v9
	s_wait_alu 0xfffd
	s_delay_alu instid0(VALU_DEP_2) | instskip(SKIP_3) | instid1(VALU_DEP_2)
	v_sub_co_ci_u32_e32 v4, vcc_lo, v6, v4, vcc_lo
	s_and_b32 vcc_lo, exec_lo, s2
	s_wait_kmcnt 0x0
	v_mul_lo_u32 v6, s23, v5
	v_mul_lo_u32 v4, s22, v4
	v_mad_co_u64_u32 v[1:2], null, s22, v5, v[1:2]
	s_delay_alu instid0(VALU_DEP_1)
	v_add3_u32 v2, v6, v2, v4
	s_wait_alu 0xfffe
	s_cbranch_vccnz .LBB0_9
; %bb.7:                                ;   in Loop: Header=BB0_2 Depth=1
	v_dual_mov_b32 v5, v7 :: v_dual_mov_b32 v6, v8
	s_branch .LBB0_2
.LBB0_8:
	v_dual_mov_b32 v8, v6 :: v_dual_mov_b32 v7, v5
.LBB0_9:
	s_lshl_b64 s[2:3], s[6:7], 3
	v_mul_hi_u32 v3, 0x4ec4ec5, v0
	s_wait_alu 0xfffe
	s_add_nc_u64 s[2:3], s[12:13], s[2:3]
	s_load_b64 s[0:1], s[0:1], 0x20
	s_load_b64 s[2:3], s[2:3], 0x0
                                        ; implicit-def: $vgpr106
                                        ; implicit-def: $vgpr105
                                        ; implicit-def: $vgpr54
                                        ; implicit-def: $vgpr53
                                        ; implicit-def: $vgpr52
                                        ; implicit-def: $vgpr51
                                        ; implicit-def: $vgpr50
                                        ; implicit-def: $vgpr49
                                        ; implicit-def: $vgpr23
	s_delay_alu instid0(VALU_DEP_1) | instskip(NEXT) | instid1(VALU_DEP_1)
	v_mul_u32_u24_e32 v3, 52, v3
	v_sub_nc_u32_e32 v92, v0, v3
	s_delay_alu instid0(VALU_DEP_1)
	v_add_nc_u32_e32 v91, 52, v92
	v_add_nc_u32_e32 v90, 0x68, v92
	;; [unrolled: 1-line block ×4, first 2 shown]
	s_wait_kmcnt 0x0
	v_cmp_gt_u64_e32 vcc_lo, s[0:1], v[7:8]
	v_mul_lo_u32 v3, s2, v8
	v_mul_lo_u32 v4, s3, v7
	v_mad_co_u64_u32 v[0:1], null, s2, v7, v[1:2]
	v_cmp_le_u64_e64 s0, s[0:1], v[7:8]
	v_add_nc_u32_e32 v87, 0x104, v92
	v_add_nc_u32_e32 v86, 0x138, v92
	;; [unrolled: 1-line block ×5, first 2 shown]
	v_add3_u32 v1, v4, v1, v3
                                        ; implicit-def: $sgpr2
	s_and_saveexec_b32 s1, s0
	s_wait_alu 0xfffe
	s_xor_b32 s0, exec_lo, s1
; %bb.10:
	v_add_nc_u32_e32 v106, 52, v92
	v_add_nc_u32_e32 v105, 0x68, v92
	;; [unrolled: 1-line block ×9, first 2 shown]
	s_mov_b32 s2, 0
; %bb.11:
	s_wait_alu 0xfffe
	s_or_saveexec_b32 s1, s0
	v_lshlrev_b64_e32 v[24:25], 3, v[0:1]
	v_dual_mov_b32 v29, s2 :: v_dual_mov_b32 v28, s2
                                        ; implicit-def: $vgpr3
                                        ; implicit-def: $vgpr7
                                        ; implicit-def: $vgpr1
                                        ; implicit-def: $vgpr5
                                        ; implicit-def: $vgpr10
                                        ; implicit-def: $vgpr14
                                        ; implicit-def: $vgpr12
                                        ; implicit-def: $vgpr16
                                        ; implicit-def: $vgpr18
                                        ; implicit-def: $vgpr22
                                        ; implicit-def: $vgpr20
                                        ; implicit-def: $vgpr27
                                        ; implicit-def: $vgpr31
                                        ; implicit-def: $vgpr40
                                        ; implicit-def: $vgpr33
                                        ; implicit-def: $vgpr42
                                        ; implicit-def: $vgpr35
                                        ; implicit-def: $vgpr44
                                        ; implicit-def: $vgpr37
                                        ; implicit-def: $vgpr46
                                        ; implicit-def: $vgpr48
	s_wait_alu 0xfffe
	s_xor_b32 exec_lo, exec_lo, s1
	s_cbranch_execz .LBB0_15
; %bb.12:
	v_mad_co_u64_u32 v[0:1], null, s8, v92, 0
	v_mad_co_u64_u32 v[2:3], null, s8, v91, 0
	v_add_nc_u32_e32 v11, 0x222, v92
	v_add_nc_u32_e32 v13, 0x256, v92
	v_add_co_u32 v8, s0, s10, v24
	s_wait_alu 0xf1ff
	v_add_co_ci_u32_e64 v23, s0, s11, v25, s0
	v_mad_co_u64_u32 v[4:5], null, s8, v11, 0
	v_mad_co_u64_u32 v[6:7], null, s9, v92, v[1:2]
	;; [unrolled: 1-line block ×3, first 2 shown]
	v_add_nc_u32_e32 v20, 0x28a, v92
	v_add_nc_u32_e32 v26, 0x2be, v92
	v_mad_co_u64_u32 v[14:15], null, s8, v89, 0
	v_mov_b32_e32 v1, v6
	v_mad_co_u64_u32 v[5:6], null, s9, v11, v[5:6]
	v_mad_co_u64_u32 v[11:12], null, s9, v91, v[3:4]
	v_mov_b32_e32 v3, v10
	s_delay_alu instid0(VALU_DEP_4)
	v_lshlrev_b64_e32 v[0:1], 3, v[0:1]
	v_mad_co_u64_u32 v[6:7], null, s8, v90, 0
	v_lshlrev_b64_e32 v[4:5], 3, v[4:5]
	v_add_nc_u32_e32 v30, 0x2f2, v92
	v_add_nc_u32_e32 v37, 0x35a, v92
	v_add_co_u32 v0, s0, v8, v0
	s_wait_alu 0xf1ff
	v_add_co_ci_u32_e64 v1, s0, v23, v1, s0
	v_mad_co_u64_u32 v[12:13], null, s9, v13, v[3:4]
	v_mov_b32_e32 v3, v11
	v_add_co_u32 v4, s0, v8, v4
	s_wait_alu 0xf1ff
	v_add_co_ci_u32_e64 v5, s0, v23, v5, s0
	s_delay_alu instid0(VALU_DEP_3) | instskip(SKIP_3) | instid1(VALU_DEP_4)
	v_lshlrev_b64_e32 v[2:3], 3, v[2:3]
	v_mov_b32_e32 v10, v12
	v_mad_co_u64_u32 v[11:12], null, s9, v90, v[7:8]
	v_mad_co_u64_u32 v[35:36], null, s8, v95, 0
	v_add_co_u32 v12, s0, v8, v2
	s_wait_alu 0xf1ff
	v_add_co_ci_u32_e64 v13, s0, v23, v3, s0
	v_lshlrev_b64_e32 v[2:3], 3, v[9:10]
	v_mad_co_u64_u32 v[9:10], null, s8, v20, 0
	v_mov_b32_e32 v7, v11
	v_mad_co_u64_u32 v[44:45], null, s8, v94, 0
	s_delay_alu instid0(VALU_DEP_4)
	v_add_co_u32 v16, s0, v8, v2
	s_wait_alu 0xf1ff
	v_add_co_ci_u32_e64 v17, s0, v23, v3, s0
	v_dual_mov_b32 v2, v10 :: v_dual_mov_b32 v3, v15
	v_lshlrev_b64_e32 v[18:19], 3, v[6:7]
	v_add_nc_u32_e32 v34, 0x326, v92
	s_mov_b32 s2, exec_lo
	v_add_nc_u32_e32 v46, 0x3c2, v92
	v_mad_co_u64_u32 v[10:11], null, s9, v20, v[2:3]
	v_mad_co_u64_u32 v[20:21], null, s9, v89, v[3:4]
	;; [unrolled: 1-line block ×3, first 2 shown]
	s_clause 0x3
	global_load_b64 v[2:3], v[0:1], off
	global_load_b64 v[6:7], v[4:5], off
	;; [unrolled: 1-line block ×4, first 2 shown]
	v_add_co_u32 v11, s0, v8, v18
	s_wait_alu 0xf1ff
	v_add_co_ci_u32_e64 v12, s0, v23, v19, s0
	v_mov_b32_e32 v15, v20
	v_mov_b32_e32 v13, v22
	v_lshlrev_b64_e32 v[9:10], 3, v[9:10]
	v_mad_co_u64_u32 v[19:20], null, s8, v30, 0
	s_delay_alu instid0(VALU_DEP_4) | instskip(SKIP_1) | instid1(VALU_DEP_2)
	v_lshlrev_b64_e32 v[14:15], 3, v[14:15]
	v_mad_co_u64_u32 v[32:33], null, s8, v34, 0
	v_mad_co_u64_u32 v[16:17], null, s9, v26, v[13:14]
	;; [unrolled: 1-line block ×3, first 2 shown]
	v_add_co_u32 v26, s0, v8, v9
	s_wait_alu 0xf1ff
	v_add_co_ci_u32_e64 v27, s0, v23, v10, s0
	s_delay_alu instid0(VALU_DEP_4) | instskip(NEXT) | instid1(VALU_DEP_4)
	v_mov_b32_e32 v22, v16
	v_dual_mov_b32 v10, v20 :: v_dual_mov_b32 v9, v18
	v_add_co_u32 v28, s0, v8, v14
	s_delay_alu instid0(VALU_DEP_3)
	v_lshlrev_b64_e32 v[13:14], 3, v[21:22]
	s_wait_alu 0xf1ff
	v_add_co_ci_u32_e64 v29, s0, v23, v15, s0
	v_mad_co_u64_u32 v[15:16], null, s9, v88, v[9:10]
	v_mad_co_u64_u32 v[9:10], null, s9, v30, v[10:11]
	;; [unrolled: 1-line block ×3, first 2 shown]
	v_add_co_u32 v21, s0, v8, v13
	s_wait_alu 0xf1ff
	v_add_co_ci_u32_e64 v22, s0, v23, v14, s0
	v_mov_b32_e32 v18, v15
	v_mov_b32_e32 v20, v9
	s_clause 0x3
	global_load_b64 v[9:10], v[11:12], off
	global_load_b64 v[13:14], v[26:27], off
	;; [unrolled: 1-line block ×4, first 2 shown]
	v_dual_mov_b32 v21, v31 :: v_dual_mov_b32 v22, v33
	v_mad_co_u64_u32 v[28:29], null, s8, v86, 0
	v_lshlrev_b64_e32 v[17:18], 3, v[17:18]
	v_lshlrev_b64_e32 v[19:20], 3, v[19:20]
	s_delay_alu instid0(VALU_DEP_4) | instskip(SKIP_1) | instid1(VALU_DEP_4)
	v_mad_co_u64_u32 v[26:27], null, s9, v87, v[21:22]
	v_mad_co_u64_u32 v[21:22], null, s9, v34, v[22:23]
	v_add_co_u32 v17, s0, v8, v17
	s_wait_alu 0xf1ff
	v_add_co_ci_u32_e64 v18, s0, v23, v18, s0
	s_delay_alu instid0(VALU_DEP_4) | instskip(SKIP_3) | instid1(VALU_DEP_4)
	v_mov_b32_e32 v31, v26
	v_add_co_u32 v19, s0, v8, v19
	v_mov_b32_e32 v33, v21
	v_mov_b32_e32 v21, v29
	v_lshlrev_b64_e32 v[26:27], 3, v[30:31]
	s_wait_alu 0xf1ff
	v_add_co_ci_u32_e64 v20, s0, v23, v20, s0
	v_lshlrev_b64_e32 v[29:30], 3, v[32:33]
	v_mad_co_u64_u32 v[31:32], null, s8, v37, 0
	v_mad_co_u64_u32 v[21:22], null, s9, v86, v[21:22]
	v_add_co_u32 v26, s0, v8, v26
	s_wait_alu 0xf1ff
	v_add_co_ci_u32_e64 v27, s0, v23, v27, s0
	s_delay_alu instid0(VALU_DEP_4) | instskip(SKIP_3) | instid1(VALU_DEP_3)
	v_mov_b32_e32 v22, v32
	v_add_co_u32 v33, s0, v8, v29
	s_wait_alu 0xf1ff
	v_add_co_ci_u32_e64 v34, s0, v23, v30, s0
	v_mad_co_u64_u32 v[37:38], null, s9, v37, v[22:23]
	v_dual_mov_b32 v30, v36 :: v_dual_mov_b32 v29, v21
	s_clause 0x3
	global_load_b64 v[17:18], v[17:18], off
	global_load_b64 v[21:22], v[19:20], off
	;; [unrolled: 1-line block ×4, first 2 shown]
	v_mov_b32_e32 v32, v37
	v_mad_co_u64_u32 v[36:37], null, s9, v95, v[30:31]
	v_mad_co_u64_u32 v[37:38], null, s8, v93, 0
	v_add_nc_u32_e32 v39, 0x38e, v92
	v_lshlrev_b64_e32 v[28:29], 3, v[28:29]
	v_lshlrev_b64_e32 v[31:32], 3, v[31:32]
	s_delay_alu instid0(VALU_DEP_3) | instskip(NEXT) | instid1(VALU_DEP_3)
	v_mad_co_u64_u32 v[33:34], null, s8, v39, 0
	v_add_co_u32 v28, s0, v8, v28
	s_wait_alu 0xf1ff
	s_delay_alu instid0(VALU_DEP_4) | instskip(NEXT) | instid1(VALU_DEP_4)
	v_add_co_ci_u32_e64 v29, s0, v23, v29, s0
	v_add_co_u32 v42, s0, v8, v31
	s_delay_alu instid0(VALU_DEP_4) | instskip(SKIP_2) | instid1(VALU_DEP_2)
	v_mov_b32_e32 v30, v34
	s_wait_alu 0xf1ff
	v_add_co_ci_u32_e64 v43, s0, v23, v32, s0
	v_mad_co_u64_u32 v[39:40], null, s9, v39, v[30:31]
	v_mov_b32_e32 v30, v38
	v_mad_co_u64_u32 v[40:41], null, s8, v46, 0
	v_lshlrev_b64_e32 v[31:32], 3, v[35:36]
	s_delay_alu instid0(VALU_DEP_1) | instskip(NEXT) | instid1(VALU_DEP_3)
	v_mad_co_u64_u32 v[35:36], null, s9, v93, v[30:31]
	v_mov_b32_e32 v30, v41
	v_add_nc_u32_e32 v36, 0x3f6, v92
	v_add_co_u32 v49, s0, v8, v31
	s_wait_alu 0xf1ff
	v_add_co_ci_u32_e64 v50, s0, v23, v32, s0
	v_mad_co_u64_u32 v[46:47], null, s9, v46, v[30:31]
	v_mov_b32_e32 v34, v39
	v_mov_b32_e32 v30, v45
	v_mad_co_u64_u32 v[47:48], null, s8, v36, 0
	s_delay_alu instid0(VALU_DEP_4) | instskip(NEXT) | instid1(VALU_DEP_4)
	v_dual_mov_b32 v38, v35 :: v_dual_mov_b32 v41, v46
	v_lshlrev_b64_e32 v[31:32], 3, v[33:34]
	s_delay_alu instid0(VALU_DEP_1) | instskip(SKIP_2) | instid1(VALU_DEP_3)
	v_mad_co_u64_u32 v[33:34], null, s9, v94, v[30:31]
	v_add_co_u32 v34, s0, v8, v31
	s_wait_alu 0xf1ff
	v_add_co_ci_u32_e64 v35, s0, v23, v32, s0
	v_lshlrev_b64_e32 v[31:32], 3, v[37:38]
	s_delay_alu instid0(VALU_DEP_4) | instskip(NEXT) | instid1(VALU_DEP_1)
	v_dual_mov_b32 v30, v48 :: v_dual_mov_b32 v45, v33
	v_mad_co_u64_u32 v[36:37], null, s9, v36, v[30:31]
	v_lshlrev_b64_e32 v[37:38], 3, v[40:41]
	v_add_co_u32 v51, s0, v8, v31
	s_delay_alu instid0(VALU_DEP_4)
	v_lshlrev_b64_e32 v[30:31], 3, v[44:45]
	s_wait_alu 0xf1ff
	v_add_co_ci_u32_e64 v52, s0, v23, v32, s0
	v_mov_b32_e32 v48, v36
	v_add_co_u32 v36, s0, v8, v37
	s_wait_alu 0xf1ff
	v_add_co_ci_u32_e64 v37, s0, v23, v38, s0
	s_delay_alu instid0(VALU_DEP_3) | instskip(SKIP_3) | instid1(VALU_DEP_3)
	v_lshlrev_b64_e32 v[32:33], 3, v[47:48]
	v_add_co_u32 v45, s0, v8, v30
	s_wait_alu 0xf1ff
	v_add_co_ci_u32_e64 v46, s0, v23, v31, s0
	v_add_co_u32 v47, s0, v8, v32
	s_wait_alu 0xf1ff
	v_add_co_ci_u32_e64 v48, s0, v23, v33, s0
	s_clause 0x7
	global_load_b64 v[30:31], v[28:29], off
	global_load_b64 v[39:40], v[42:43], off
	;; [unrolled: 1-line block ×8, first 2 shown]
	v_dual_mov_b32 v28, 0 :: v_dual_mov_b32 v29, 0
                                        ; implicit-def: $vgpr47
	v_cmpx_gt_u32_e32 26, v92
	s_cbranch_execz .LBB0_14
; %bb.13:
	v_add_nc_u32_e32 v50, 0x42a, v92
	s_delay_alu instid0(VALU_DEP_1) | instskip(NEXT) | instid1(VALU_DEP_1)
	v_mad_co_u64_u32 v[47:48], null, s8, v50, 0
	v_dual_mov_b32 v38, v48 :: v_dual_add_nc_u32 v49, 0x208, v92
	s_delay_alu instid0(VALU_DEP_1) | instskip(SKIP_1) | instid1(VALU_DEP_1)
	v_mad_co_u64_u32 v[28:29], null, s8, v49, 0
	s_wait_loadcnt 0x7
	v_mad_co_u64_u32 v[48:49], null, s9, v49, v[29:30]
	s_delay_alu instid0(VALU_DEP_1) | instskip(SKIP_2) | instid1(VALU_DEP_2)
	v_mov_b32_e32 v29, v48
	s_wait_loadcnt 0x6
	v_mad_co_u64_u32 v[49:50], null, s9, v50, v[38:39]
	v_lshlrev_b64_e32 v[28:29], 3, v[28:29]
	s_delay_alu instid0(VALU_DEP_2) | instskip(NEXT) | instid1(VALU_DEP_2)
	v_mov_b32_e32 v48, v49
	v_add_co_u32 v28, s0, v8, v28
	s_wait_alu 0xf1ff
	s_delay_alu instid0(VALU_DEP_3) | instskip(NEXT) | instid1(VALU_DEP_3)
	v_add_co_ci_u32_e64 v29, s0, v23, v29, s0
	v_lshlrev_b64_e32 v[47:48], 3, v[47:48]
	s_delay_alu instid0(VALU_DEP_1) | instskip(SKIP_1) | instid1(VALU_DEP_2)
	v_add_co_u32 v47, s0, v8, v47
	s_wait_alu 0xf1ff
	v_add_co_ci_u32_e64 v48, s0, v23, v48, s0
	s_clause 0x1
	global_load_b64 v[28:29], v[28:29], off
	global_load_b64 v[47:48], v[47:48], off
.LBB0_14:
	s_wait_alu 0xfffe
	s_or_b32 exec_lo, exec_lo, s2
	v_dual_mov_b32 v23, v94 :: v_dual_mov_b32 v50, v95
	v_dual_mov_b32 v49, v93 :: v_dual_mov_b32 v52, v87
	;; [unrolled: 1-line block ×4, first 2 shown]
	v_mov_b32_e32 v105, v90
.LBB0_15:
	s_or_b32 exec_lo, exec_lo, s1
	s_wait_loadcnt 0xe
	v_sub_f32_e32 v60, v9, v13
	v_sub_f32_e32 v56, v2, v6
	s_wait_loadcnt 0x6
	v_dual_sub_f32 v58, v0, v4 :: v_dual_sub_f32 v39, v30, v39
	v_sub_f32_e32 v62, v11, v15
	v_sub_f32_e32 v64, v17, v21
	;; [unrolled: 1-line block ×3, first 2 shown]
	v_fma_f32 v59, v9, 2.0, -v60
	s_wait_loadcnt 0x0
	v_dual_sub_f32 v9, v28, v47 :: v_dual_add_nc_u32 v96, 0x208, v92
	v_sub_f32_e32 v68, v32, v41
	v_sub_f32_e32 v70, v34, v43
	;; [unrolled: 1-line block ×3, first 2 shown]
	v_fma_f32 v55, v2, 2.0, -v56
	v_fma_f32 v57, v0, 2.0, -v58
	;; [unrolled: 1-line block ×6, first 2 shown]
	v_lshl_add_u32 v2, v92, 3, 0
	v_fma_f32 v8, v28, 2.0, -v9
	v_lshl_add_u32 v26, v106, 3, 0
	v_lshl_add_u32 v6, v105, 3, 0
	;; [unrolled: 1-line block ×9, first 2 shown]
	v_cmp_gt_u32_e64 s1, 26, v92
	v_lshl_add_u32 v28, v96, 3, 0
	v_fma_f32 v67, v32, 2.0, -v68
	v_fma_f32 v69, v34, 2.0, -v70
	;; [unrolled: 1-line block ×3, first 2 shown]
	ds_store_b64 v2, v[55:56]
	ds_store_b64 v26, v[57:58]
	;; [unrolled: 1-line block ×10, first 2 shown]
	s_and_saveexec_b32 s0, s1
	s_cbranch_execz .LBB0_17
; %bb.16:
	ds_store_b64 v28, v[8:9]
.LBB0_17:
	s_wait_alu 0xfffe
	s_or_b32 exec_lo, exec_lo, s0
	v_lshl_add_u32 v97, v92, 2, 0
	v_lshlrev_b32_e32 v0, 2, v105
	v_lshlrev_b32_e32 v30, 2, v54
	global_wb scope:SCOPE_SE
	s_wait_dscnt 0x0
	s_barrier_signal -1
	v_add_nc_u32_e32 v36, 0x800, v97
	s_barrier_wait -1
	global_inv scope:SCOPE_SE
	v_lshlrev_b32_e32 v32, 2, v53
	v_lshlrev_b32_e32 v34, 2, v52
	ds_load_2addr_b32 v[38:39], v36 offset0:34 offset1:86
	ds_load_2addr_b32 v[66:67], v36 offset0:138 offset1:190
	v_lshlrev_b32_e32 v36, 2, v51
	v_lshlrev_b32_e32 v43, 2, v50
	;; [unrolled: 1-line block ×3, first 2 shown]
	v_add_nc_u32_e32 v41, 0xa00, v97
	v_add_nc_u32_e32 v62, 0xc00, v97
	v_lshlrev_b32_e32 v74, 2, v23
	v_lshl_add_u32 v98, v106, 2, 0
	v_sub_nc_u32_e32 v45, v6, v0
	v_sub_nc_u32_e32 v47, v11, v30
	v_sub_nc_u32_e32 v58, v4, v32
	v_sub_nc_u32_e32 v59, v13, v34
	v_sub_nc_u32_e32 v60, v15, v36
	v_sub_nc_u32_e32 v61, v21, v43
	v_sub_nc_u32_e32 v63, v19, v73
	ds_load_2addr_b32 v[64:65], v41 offset0:114 offset1:166
	ds_load_2addr_b32 v[68:69], v62 offset0:90 offset1:142
	v_sub_nc_u32_e32 v72, v17, v74
	ds_load_b32 v41, v97
	ds_load_b32 v55, v98
	;; [unrolled: 1-line block ×8, first 2 shown]
	ds_load_2addr_b32 v[70:71], v62 offset0:194 offset1:246
	ds_load_b32 v62, v63
	ds_load_b32 v63, v72
	s_and_saveexec_b32 s0, s1
	s_cbranch_execz .LBB0_19
; %bb.18:
	ds_load_b32 v8, v97 offset:2080
	ds_load_b32 v9, v97 offset:4264
.LBB0_19:
	s_wait_alu 0xfffe
	s_or_b32 exec_lo, exec_lo, s0
	v_dual_sub_f32 v77, v1, v5 :: v_dual_sub_f32 v100, v31, v40
	v_dual_sub_f32 v75, v3, v7 :: v_dual_sub_f32 v102, v33, v42
	;; [unrolled: 1-line block ×3, first 2 shown]
	s_delay_alu instid0(VALU_DEP_3)
	v_fma_f32 v76, v1, 2.0, -v77
	v_sub_f32_e32 v1, v29, v48
	v_dual_sub_f32 v81, v12, v16 :: v_dual_sub_f32 v108, v37, v46
	v_sub_f32_e32 v83, v18, v22
	v_sub_nc_u32_e32 v72, 0, v0
	v_sub_nc_u32_e32 v47, 0, v30
	;; [unrolled: 1-line block ×8, first 2 shown]
	v_fma_f32 v74, v3, 2.0, -v75
	v_sub_f32_e32 v85, v20, v27
	v_fma_f32 v0, v29, 2.0, -v1
	v_fma_f32 v78, v10, 2.0, -v79
	;; [unrolled: 1-line block ×9, first 2 shown]
	global_wb scope:SCOPE_SE
	s_wait_dscnt 0x0
	s_barrier_signal -1
	s_barrier_wait -1
	global_inv scope:SCOPE_SE
	ds_store_b64 v2, v[74:75]
	ds_store_b64 v26, v[76:77]
	;; [unrolled: 1-line block ×10, first 2 shown]
	s_and_saveexec_b32 s0, s1
	s_cbranch_execz .LBB0_21
; %bb.20:
	ds_store_b64 v28, v[0:1]
.LBB0_21:
	s_wait_alu 0xfffe
	s_or_b32 exec_lo, exec_lo, s0
	v_add_nc_u32_e32 v5, 0x800, v97
	v_add_nc_u32_e32 v10, 0xa00, v97
	;; [unrolled: 1-line block ×6, first 2 shown]
	global_wb scope:SCOPE_SE
	s_wait_dscnt 0x0
	s_barrier_signal -1
	s_barrier_wait -1
	global_inv scope:SCOPE_SE
	ds_load_2addr_b32 v[2:3], v5 offset0:34 offset1:86
	ds_load_2addr_b32 v[6:7], v5 offset0:138 offset1:190
	;; [unrolled: 1-line block ×3, first 2 shown]
	v_add_nc_u32_e32 v103, v13, v30
	v_add_nc_u32_e32 v104, v15, v45
	ds_load_2addr_b32 v[4:5], v12 offset0:90 offset1:142
	v_add_nc_u32_e32 v101, v21, v43
	v_add_nc_u32_e32 v14, v19, v36
	;; [unrolled: 1-line block ×3, first 2 shown]
	ds_load_b32 v72, v97
	ds_load_b32 v21, v98
	;; [unrolled: 1-line block ×8, first 2 shown]
	ds_load_2addr_b32 v[12:13], v12 offset0:194 offset1:246
	ds_load_b32 v18, v14
	ds_load_b32 v19, v27
	v_lshlrev_b32_e32 v26, 1, v92
	v_lshlrev_b32_e32 v28, 1, v106
	;; [unrolled: 1-line block ×10, first 2 shown]
	s_and_saveexec_b32 s0, s1
	s_cbranch_execz .LBB0_23
; %bb.22:
	ds_load_b32 v0, v97 offset:2080
	ds_load_b32 v1, v97 offset:4264
.LBB0_23:
	s_wait_alu 0xfffe
	s_or_b32 exec_lo, exec_lo, s0
	v_and_b32_e32 v20, 1, v92
	s_delay_alu instid0(VALU_DEP_1)
	v_lshlrev_b32_e32 v14, 3, v20
	v_and_or_b32 v43, 0x7c, v26, v20
	global_load_b64 v[14:15], v14, s[4:5]
	v_lshl_add_u32 v73, v43, 2, 0
	v_lshlrev_b32_e32 v23, 1, v96
	global_wb scope:SCOPE_SE
	s_wait_loadcnt_dscnt 0x0
	s_barrier_signal -1
	s_barrier_wait -1
	global_inv scope:SCOPE_SE
	v_mul_f32_e32 v43, v7, v15
	v_and_or_b32 v47, 0x3fc, v35, v20
	v_and_or_b32 v36, 0x3fc, v36, v20
	;; [unrolled: 1-line block ×5, first 2 shown]
	v_lshl_add_u32 v77, v47, 2, 0
	v_lshl_add_u32 v80, v36, 2, 0
	v_mul_f32_e32 v36, v2, v15
	v_mul_f32_e32 v47, v5, v15
	v_and_or_b32 v48, 0x2fc, v37, v20
	v_and_or_b32 v40, 0x3fc, v40, v20
	v_lshl_add_u32 v74, v44, 2, 0
	v_fmac_f32_e32 v36, v38, v14
	v_lshl_add_u32 v75, v45, 2, 0
	v_lshl_add_u32 v82, v42, 2, 0
	v_dual_mul_f32 v42, v6, v15 :: v_dual_fmac_f32 v43, v67, v14
	v_dual_mul_f32 v44, v10, v15 :: v_dual_fmac_f32 v47, v69, v14
	v_mul_f32_e32 v45, v11, v15
	v_and_or_b32 v46, 0x1fc, v33, v20
	v_lshl_add_u32 v78, v48, 2, 0
	v_lshl_add_u32 v81, v40, 2, 0
	s_delay_alu instid0(VALU_DEP_4)
	v_dual_mul_f32 v40, v3, v15 :: v_dual_fmac_f32 v45, v65, v14
	v_dual_mul_f32 v51, v1, v15 :: v_dual_fmac_f32 v42, v66, v14
	v_fmac_f32_e32 v44, v64, v14
	v_mul_f32_e32 v48, v12, v15
	v_sub_f32_e32 v54, v57, v43
	v_sub_f32_e32 v43, v61, v47
	v_dual_mul_f32 v50, v13, v15 :: v_dual_sub_f32 v53, v56, v42
	v_and_or_b32 v49, 0x2fc, v29, v20
	v_lshl_add_u32 v76, v46, 2, 0
	v_fmac_f32_e32 v40, v39, v14
	v_dual_mul_f32 v46, v4, v15 :: v_dual_fmac_f32 v51, v9, v14
	v_dual_fmac_f32 v50, v71, v14 :: v_dual_sub_f32 v83, v58, v44
	v_fmac_f32_e32 v48, v70, v14
	v_lshl_add_u32 v79, v49, 2, 0
	s_delay_alu instid0(VALU_DEP_4) | instskip(NEXT) | instid1(VALU_DEP_4)
	v_fmac_f32_e32 v46, v68, v14
	v_dual_sub_f32 v52, v41, v36 :: v_dual_sub_f32 v47, v63, v50
	v_dual_sub_f32 v84, v59, v45 :: v_dual_sub_f32 v45, v8, v51
	v_sub_f32_e32 v49, v62, v48
	v_sub_f32_e32 v40, v55, v40
	;; [unrolled: 1-line block ×3, first 2 shown]
	v_fma_f32 v41, v41, 2.0, -v52
	v_fma_f32 v42, v61, 2.0, -v43
	;; [unrolled: 1-line block ×11, first 2 shown]
	ds_store_2addr_b32 v73, v41, v52 offset1:2
	ds_store_2addr_b32 v74, v50, v40 offset1:2
	;; [unrolled: 1-line block ×10, first 2 shown]
	s_and_saveexec_b32 s0, s1
	s_cbranch_execz .LBB0_25
; %bb.24:
	v_and_or_b32 v8, 0x47c, v23, v20
	s_delay_alu instid0(VALU_DEP_1)
	v_lshl_add_u32 v8, v8, 2, 0
	ds_store_2addr_b32 v8, v44, v45 offset1:2
.LBB0_25:
	s_wait_alu 0xfffe
	s_or_b32 exec_lo, exec_lo, s0
	v_add_nc_u32_e32 v8, 0x400, v97
	v_add_nc_u32_e32 v54, 0x600, v97
	;; [unrolled: 1-line block ×4, first 2 shown]
	global_wb scope:SCOPE_SE
	s_wait_dscnt 0x0
	s_barrier_signal -1
	s_barrier_wait -1
	global_inv scope:SCOPE_SE
	ds_load_2addr_b32 v[40:41], v97 offset1:84
	ds_load_2addr_b32 v[62:63], v97 offset0:168 offset1:252
	ds_load_2addr_b32 v[58:59], v8 offset0:80 offset1:164
	ds_load_2addr_b32 v[56:57], v54 offset0:120 offset1:204
	ds_load_2addr_b32 v[52:53], v60 offset0:160 offset1:244
	ds_load_2addr_b32 v[50:51], v83 offset0:72 offset1:156
	ds_load_b32 v121, v97 offset:4032
	v_cmp_gt_u32_e64 s0, 32, v92
                                        ; implicit-def: $vgpr55
                                        ; implicit-def: $vgpr61
	s_delay_alu instid0(VALU_DEP_1)
	s_and_saveexec_b32 s2, s0
	s_cbranch_execz .LBB0_27
; %bb.26:
	v_add_nc_u32_e32 v55, 0xe00, v97
	ds_load_b32 v36, v98
	ds_load_2addr_b32 v[42:43], v97 offset0:136 offset1:220
	ds_load_2addr_b32 v[48:49], v8 offset0:48 offset1:132
	;; [unrolled: 1-line block ×6, first 2 shown]
.LBB0_27:
	s_wait_alu 0xfffe
	s_or_b32 exec_lo, exec_lo, s2
	v_mul_f32_e32 v9, v9, v15
	v_mul_f32_e32 v8, v38, v15
	global_wb scope:SCOPE_SE
	s_wait_dscnt 0x0
	s_barrier_signal -1
	s_barrier_wait -1
	v_fma_f32 v1, v1, v14, -v9
	v_mul_f32_e32 v38, v39, v15
	v_fma_f32 v2, v2, v14, -v8
	v_mul_f32_e32 v39, v66, v15
	v_mul_f32_e32 v66, v67, v15
	;; [unrolled: 1-line block ×3, first 2 shown]
	v_sub_f32_e32 v67, v0, v1
	v_fma_f32 v3, v3, v14, -v38
	v_mul_f32_e32 v38, v65, v15
	v_sub_f32_e32 v2, v72, v2
	v_fma_f32 v6, v6, v14, -v39
	v_fma_f32 v8, v10, v14, -v8
	v_mul_f32_e32 v39, v71, v15
	v_fma_f32 v10, v11, v14, -v38
	s_delay_alu instid0(VALU_DEP_4) | instskip(SKIP_3) | instid1(VALU_DEP_4)
	v_dual_mul_f32 v11, v69, v15 :: v_dual_sub_f32 v6, v22, v6
	v_mul_f32_e32 v38, v70, v15
	v_mul_f32_e32 v64, v68, v15
	v_sub_f32_e32 v8, v32, v8
	v_fma_f32 v5, v5, v14, -v11
	v_fma_f32 v7, v7, v14, -v66
	;; [unrolled: 1-line block ×5, first 2 shown]
	v_sub_f32_e32 v3, v21, v3
	v_sub_f32_e32 v65, v17, v5
	;; [unrolled: 1-line block ×5, first 2 shown]
	v_fma_f32 v9, v72, 2.0, -v2
	v_sub_f32_e32 v10, v34, v10
	v_fma_f32 v13, v21, 2.0, -v3
	v_fma_f32 v21, v32, 2.0, -v8
	v_sub_f32_e32 v32, v16, v4
	v_fma_f32 v64, v17, 2.0, -v65
	v_fma_f32 v70, v18, 2.0, -v71
	v_fma_f32 v68, v19, 2.0, -v69
	v_fma_f32 v66, v0, 2.0, -v67
	v_fma_f32 v14, v22, 2.0, -v6
	v_fma_f32 v15, v30, 2.0, -v7
	v_fma_f32 v22, v34, 2.0, -v10
	v_fma_f32 v1, v16, 2.0, -v32
	global_inv scope:SCOPE_SE
	ds_store_2addr_b32 v73, v9, v2 offset1:2
	ds_store_2addr_b32 v74, v13, v3 offset1:2
	;; [unrolled: 1-line block ×10, first 2 shown]
	s_and_saveexec_b32 s2, s1
	s_cbranch_execz .LBB0_29
; %bb.28:
	v_and_or_b32 v0, 0x47c, v23, v20
	s_delay_alu instid0(VALU_DEP_1)
	v_lshl_add_u32 v0, v0, 2, 0
	ds_store_2addr_b32 v0, v66, v67 offset1:2
.LBB0_29:
	s_wait_alu 0xfffe
	s_or_b32 exec_lo, exec_lo, s2
	v_add_nc_u32_e32 v0, 0x400, v97
	v_add_nc_u32_e32 v1, 0x600, v97
	;; [unrolled: 1-line block ×4, first 2 shown]
	global_wb scope:SCOPE_SE
	s_wait_dscnt 0x0
	s_barrier_signal -1
	s_barrier_wait -1
	global_inv scope:SCOPE_SE
	ds_load_2addr_b32 v[38:39], v97 offset1:84
	ds_load_2addr_b32 v[84:85], v97 offset0:168 offset1:252
	ds_load_2addr_b32 v[80:81], v0 offset0:80 offset1:164
	;; [unrolled: 1-line block ×5, first 2 shown]
	ds_load_b32 v128, v97 offset:4032
                                        ; implicit-def: $vgpr79
                                        ; implicit-def: $vgpr83
	s_and_saveexec_b32 s1, s0
	s_cbranch_execz .LBB0_31
; %bb.30:
	v_add_nc_u32_e32 v4, 0xe00, v97
	ds_load_b32 v32, v98
	ds_load_2addr_b32 v[64:65], v97 offset0:136 offset1:220
	ds_load_2addr_b32 v[70:71], v0 offset0:48 offset1:132
	;; [unrolled: 1-line block ×6, first 2 shown]
.LBB0_31:
	s_wait_alu 0xfffe
	s_or_b32 exec_lo, exec_lo, s1
	v_and_b32_e32 v30, 3, v92
	v_lshrrev_b32_e32 v34, 2, v92
	s_delay_alu instid0(VALU_DEP_2) | instskip(NEXT) | instid1(VALU_DEP_2)
	v_mul_u32_u24_e32 v0, 12, v30
	v_mul_u32_u24_e32 v107, 52, v34
	v_lshrrev_b32_e32 v34, 2, v106
	s_delay_alu instid0(VALU_DEP_3)
	v_lshlrev_b32_e32 v16, 3, v0
	s_clause 0x5
	global_load_b128 v[12:15], v16, s[4:5] offset:16
	global_load_b128 v[8:11], v16, s[4:5] offset:32
	;; [unrolled: 1-line block ×6, first 2 shown]
	global_wb scope:SCOPE_SE
	s_wait_loadcnt_dscnt 0x0
	s_barrier_signal -1
	s_barrier_wait -1
	global_inv scope:SCOPE_SE
	v_dual_mul_f32 v126, v39, v13 :: v_dual_mul_f32 v119, v80, v11
	v_mul_f32_e32 v129, v41, v13
	v_or_b32_e32 v106, v107, v30
	v_dual_mul_f32 v122, v85, v9 :: v_dual_mul_f32 v115, v76, v7
	v_dual_mul_f32 v132, v58, v11 :: v_dual_mul_f32 v135, v57, v1
	;; [unrolled: 1-line block ×5, first 2 shown]
	v_lshl_add_u32 v112, v106, 2, 0
	v_dual_mul_f32 v124, v84, v15 :: v_dual_mul_f32 v117, v81, v5
	v_dual_mul_f32 v130, v62, v15 :: v_dual_mul_f32 v133, v59, v5
	v_mul_f32_e32 v131, v63, v9
	v_dual_mul_f32 v116, v77, v1 :: v_dual_mul_f32 v123, v72, v23
	v_dual_mul_f32 v118, v74, v3 :: v_dual_mul_f32 v125, v73, v17
	;; [unrolled: 1-line block ×5, first 2 shown]
	v_mul_f32_e32 v142, v43, v15
	v_mul_f32_e32 v108, v70, v9
	v_dual_mul_f32 v106, v71, v11 :: v_dual_mul_f32 v145, v46, v5
	v_dual_mul_f32 v144, v49, v11 :: v_dual_mul_f32 v9, v68, v5
	v_dual_mul_f32 v11, v67, v3 :: v_dual_fmac_f32 v124, v62, v14
	v_dual_mul_f32 v148, v45, v3 :: v_dual_mul_f32 v107, v82, v21
	v_dual_mul_f32 v149, v60, v21 :: v_dual_mul_f32 v150, v61, v23
	v_dual_mul_f32 v109, v83, v23 :: v_dual_fmac_f32 v116, v57, v0
	v_dual_mul_f32 v111, v78, v17 :: v_dual_mul_f32 v114, v79, v19
	v_dual_mul_f32 v151, v54, v17 :: v_dual_mul_f32 v152, v55, v19
	v_dual_fmac_f32 v122, v63, v8 :: v_dual_fmac_f32 v119, v58, v10
	v_fma_f32 v21, v80, v10, -v132
	v_dual_fmac_f32 v115, v56, v6 :: v_dual_fmac_f32 v126, v41, v12
	v_fma_f32 v56, v39, v12, -v129
	;; [unrolled: 2-line block ×3, first 2 shown]
	v_fma_f32 v41, v128, v18, -v140
	v_mul_f32_e32 v5, v69, v7
	v_fma_f32 v63, v84, v14, -v130
	v_dual_fmac_f32 v117, v59, v4 :: v_dual_fmac_f32 v118, v52, v2
	v_fma_f32 v13, v76, v6, -v134
	v_fma_f32 v15, v77, v0, -v135
	v_dual_fmac_f32 v125, v51, v16 :: v_dual_fmac_f32 v106, v49, v10
	v_fma_f32 v52, v73, v16, -v139
	v_dual_fmac_f32 v127, v121, v18 :: v_dual_fmac_f32 v108, v48, v8
	v_dual_fmac_f32 v113, v42, v12 :: v_dual_fmac_f32 v110, v43, v14
	v_fma_f32 v51, v64, v12, -v141
	v_dual_fmac_f32 v9, v46, v4 :: v_dual_fmac_f32 v114, v55, v18
	v_fmac_f32_e32 v11, v45, v2
	v_dual_fmac_f32 v111, v54, v16 :: v_dual_add_f32 v12, v40, v126
	v_fma_f32 v43, v78, v16, -v151
	v_dual_sub_f32 v16, v56, v41 :: v_dual_add_f32 v45, v119, v120
	v_sub_f32_e32 v46, v21, v23
	v_dual_mul_f32 v146, v47, v7 :: v_dual_mul_f32 v147, v44, v1
	v_mul_f32_e32 v7, v66, v1
	v_fma_f32 v62, v85, v8, -v131
	v_fma_f32 v17, v81, v4, -v133
	;; [unrolled: 1-line block ×6, first 2 shown]
	v_dual_fmac_f32 v5, v47, v6 :: v_dual_add_f32 v14, v126, v127
	v_fmac_f32_e32 v107, v60, v20
	v_fma_f32 v4, v82, v20, -v149
	v_dual_sub_f32 v20, v63, v52 :: v_dual_add_f32 v47, v117, v118
	v_dual_sub_f32 v49, v13, v15 :: v_dual_mul_f32 v54, 0xbeedf032, v16
	v_mul_f32_e32 v59, 0xbf29c268, v16
	v_dual_mul_f32 v73, 0x3f29c268, v46 :: v_dual_add_f32 v12, v12, v124
	v_mul_f32_e32 v55, 0xbf52af12, v16
	v_fma_f32 v42, v70, v8, -v143
	v_fma_f32 v8, v71, v10, -v144
	v_fmac_f32_e32 v7, v44, v0
	v_fma_f32 v0, v66, v0, -v147
	v_fmac_f32_e32 v109, v61, v22
	v_fma_f32 v10, v79, v18, -v152
	v_add_f32_e32 v18, v124, v125
	v_sub_f32_e32 v44, v62, v39
	v_dual_sub_f32 v48, v17, v19 :: v_dual_add_f32 v53, v115, v116
	v_dual_mul_f32 v58, 0xbf6f5d39, v16 :: v_dual_mul_f32 v121, 0xbf6f5d39, v49
	v_dual_mul_f32 v61, 0xbf6f5d39, v20 :: v_dual_mul_f32 v72, 0xbf6f5d39, v46
	v_mul_f32_e32 v66, 0x3f7e222b, v20
	s_delay_alu instid0(VALU_DEP_4)
	v_dual_mul_f32 v74, 0x3eedf032, v46 :: v_dual_mul_f32 v81, 0x3eedf032, v48
	v_mul_f32_e32 v84, 0xbf29c268, v49
	v_mul_f32_e32 v85, 0x3f52af12, v49
	v_fmamk_f32 v128, v14, 0x3f62ad3f, v54
	v_mul_f32_e32 v76, 0x3e750f2a, v46
	v_fma_f32 v54, 0x3f62ad3f, v14, -v54
	v_mul_f32_e32 v57, 0xbf7e222b, v16
	v_dual_fmamk_f32 v132, v14, 0xbf3f9e67, v59 :: v_dual_fmamk_f32 v155, v53, 0xbf3f9e67, v84
	v_fma_f32 v59, 0xbf3f9e67, v14, -v59
	v_add_f32_e32 v12, v12, v122
	v_mul_f32_e32 v75, 0xbf7e222b, v46
	v_mul_f32_e32 v46, 0x3f52af12, v46
	v_fmamk_f32 v129, v14, 0x3f116cb1, v55
	v_fma_f32 v55, 0x3f116cb1, v14, -v55
	v_mul_f32_e32 v16, 0xbe750f2a, v16
	v_fma_f32 v1, v69, v6, -v146
	v_fma_f32 v2, v67, v2, -v148
	;; [unrolled: 1-line block ×3, first 2 shown]
	v_add_f32_e32 v55, v40, v55
	v_add_f32_e32 v22, v122, v123
	v_dual_mul_f32 v68, 0xbe750f2a, v44 :: v_dual_add_f32 v59, v40, v59
	v_mul_f32_e32 v82, 0xbe750f2a, v49
	v_mul_f32_e32 v83, 0x3eedf032, v49
	;; [unrolled: 1-line block ×3, first 2 shown]
	v_fmamk_f32 v134, v18, 0xbeb58ec6, v61
	v_fma_f32 v61, 0xbeb58ec6, v18, -v61
	v_fmamk_f32 v133, v14, 0xbf788fa5, v16
	v_mul_f32_e32 v71, 0xbf52af12, v44
	v_fmamk_f32 v148, v45, 0x3f116cb1, v46
	v_dual_mul_f32 v65, 0x3f29c268, v20 :: v_dual_add_f32 v54, v40, v54
	v_fmamk_f32 v130, v14, 0x3df6dbef, v57
	v_mul_f32_e32 v60, 0xbf52af12, v20
	v_fma_f32 v57, 0x3df6dbef, v14, -v57
	v_mul_f32_e32 v64, 0xbe750f2a, v20
	v_mul_f32_e32 v20, 0x3eedf032, v20
	v_dual_add_f32 v12, v12, v119 :: v_dual_fmamk_f32 v137, v18, 0x3df6dbef, v66
	v_fmamk_f32 v146, v45, 0x3df6dbef, v75
	v_fma_f32 v66, 0x3df6dbef, v18, -v66
	v_mul_f32_e32 v80, 0x3e750f2a, v48
	v_fmamk_f32 v131, v14, 0xbeb58ec6, v58
	v_fma_f32 v58, 0xbeb58ec6, v14, -v58
	v_mul_f32_e32 v69, 0x3f6f5d39, v44
	v_fma_f32 v14, 0xbf788fa5, v14, -v16
	v_fmamk_f32 v142, v22, 0x3f116cb1, v71
	v_fma_f32 v71, 0x3f116cb1, v22, -v71
	v_fmamk_f32 v147, v45, 0xbf788fa5, v76
	v_dual_fmamk_f32 v136, v18, 0xbf3f9e67, v65 :: v_dual_add_f32 v57, v40, v57
	v_fmamk_f32 v135, v18, 0xbf788fa5, v64
	v_dual_mul_f32 v70, 0x3eedf032, v44 :: v_dual_add_f32 v59, v66, v59
	v_mul_f32_e32 v67, 0xbf7e222b, v44
	v_dual_mul_f32 v77, 0xbf29c268, v48 :: v_dual_add_f32 v14, v40, v14
	v_mul_f32_e32 v78, 0x3f7e222b, v48
	s_delay_alu instid0(VALU_DEP_4)
	v_dual_fmamk_f32 v16, v18, 0x3f116cb1, v60 :: v_dual_add_f32 v59, v71, v59
	v_mul_f32_e32 v79, 0xbf52af12, v48
	v_fma_f32 v60, 0x3f116cb1, v18, -v60
	v_fma_f32 v64, 0xbf788fa5, v18, -v64
	v_mul_f32_e32 v44, 0xbf29c268, v44
	v_fma_f32 v65, 0xbf3f9e67, v18, -v65
	v_dual_fmamk_f32 v141, v22, 0x3f62ad3f, v70 :: v_dual_fmamk_f32 v152, v47, 0x3f62ad3f, v81
	v_fma_f32 v76, 0xbf788fa5, v45, -v76
	v_fmamk_f32 v138, v18, 0x3f62ad3f, v20
	v_fma_f32 v18, 0x3f62ad3f, v18, -v20
	v_add_f32_e32 v58, v40, v58
	v_fmamk_f32 v140, v22, 0xbeb58ec6, v69
	v_mul_f32_e32 v48, 0xbf6f5d39, v48
	v_fmamk_f32 v139, v22, 0xbf788fa5, v68
	v_fma_f32 v68, 0xbf788fa5, v22, -v68
	v_add_f32_e32 v58, v65, v58
	v_fma_f32 v69, 0xbeb58ec6, v22, -v69
	v_fma_f32 v70, 0x3f62ad3f, v22, -v70
	v_fmamk_f32 v144, v45, 0xbf3f9e67, v73
	v_fma_f32 v73, 0xbf3f9e67, v45, -v73
	v_dual_fmamk_f32 v145, v45, 0x3f62ad3f, v74 :: v_dual_add_f32 v12, v12, v117
	v_fma_f32 v74, 0x3f62ad3f, v45, -v74
	v_fma_f32 v75, 0x3df6dbef, v45, -v75
	v_fmamk_f32 v149, v47, 0x3df6dbef, v78
	v_fma_f32 v78, 0x3df6dbef, v47, -v78
	v_fmamk_f32 v150, v47, 0x3f116cb1, v79
	v_fma_f32 v79, 0x3f116cb1, v47, -v79
	v_dual_fmamk_f32 v151, v47, 0xbf788fa5, v80 :: v_dual_add_f32 v14, v18, v14
	v_fmamk_f32 v20, v22, 0x3df6dbef, v67
	v_fma_f32 v67, 0x3df6dbef, v22, -v67
	v_fma_f32 v80, 0xbf788fa5, v47, -v80
	;; [unrolled: 1-line block ×3, first 2 shown]
	v_fmamk_f32 v153, v47, 0xbeb58ec6, v48
	v_fmamk_f32 v154, v53, 0x3f62ad3f, v83
	v_fma_f32 v83, 0x3f62ad3f, v53, -v83
	v_fma_f32 v84, 0xbf3f9e67, v53, -v84
	v_fmamk_f32 v156, v53, 0x3f116cb1, v85
	v_fma_f32 v85, 0x3f116cb1, v53, -v85
	v_dual_fmamk_f32 v157, v53, 0xbeb58ec6, v121 :: v_dual_add_f32 v12, v12, v115
	v_fma_f32 v121, 0xbeb58ec6, v53, -v121
	v_fmamk_f32 v158, v53, 0x3df6dbef, v49
	v_fma_f32 v49, 0x3df6dbef, v53, -v49
	v_add_f32_e32 v57, v64, v57
	v_fmamk_f32 v143, v22, 0xbf3f9e67, v44
	v_fma_f32 v22, 0xbf3f9e67, v22, -v44
	v_fmamk_f32 v44, v45, 0xbeb58ec6, v72
	v_fma_f32 v72, 0xbeb58ec6, v45, -v72
	v_fma_f32 v45, 0x3f116cb1, v45, -v46
	v_fmamk_f32 v46, v47, 0xbf3f9e67, v77
	v_fma_f32 v77, 0xbf3f9e67, v47, -v77
	v_fma_f32 v47, 0xbeb58ec6, v47, -v48
	v_fmamk_f32 v48, v53, 0xbf788fa5, v82
	v_fma_f32 v82, 0xbf788fa5, v53, -v82
	v_add_f32_e32 v53, v40, v128
	v_add_f32_e32 v128, v40, v129
	;; [unrolled: 1-line block ×14, first 2 shown]
	v_dual_add_f32 v54, v69, v57 :: v_dual_add_f32 v57, v70, v58
	v_dual_add_f32 v60, v136, v130 :: v_dual_add_f32 v55, v135, v129
	;; [unrolled: 1-line block ×3, first 2 shown]
	v_add_f32_e32 v16, v44, v16
	s_delay_alu instid0(VALU_DEP_4)
	v_add_f32_e32 v44, v74, v54
	v_dual_add_f32 v54, v75, v57 :: v_dual_add_f32 v57, v76, v59
	v_add_f32_e32 v64, v138, v132
	v_add_f32_e32 v12, v12, v118
	v_dual_add_f32 v20, v139, v53 :: v_dual_add_f32 v53, v140, v55
	v_dual_add_f32 v55, v141, v60 :: v_dual_add_f32 v58, v142, v61
	v_add_f32_e32 v14, v45, v14
	v_add_f32_e32 v60, v143, v64
	v_add_f32_e32 v12, v12, v120
	v_add_f32_e32 v20, v144, v20
	v_add_f32_e32 v22, v73, v40
	v_dual_add_f32 v40, v145, v53 :: v_dual_add_f32 v53, v146, v55
	v_dual_add_f32 v55, v147, v58 :: v_dual_add_f32 v16, v46, v16
	v_add_f32_e32 v46, v80, v54
	v_add_f32_e32 v54, v81, v57
	v_add_f32_e32 v14, v47, v14
	v_add_f32_e32 v58, v148, v60
	v_add_f32_e32 v12, v12, v123
	v_add_f32_e32 v20, v149, v20
	v_dual_add_f32 v40, v150, v40 :: v_dual_add_f32 v45, v151, v53
	v_dual_add_f32 v53, v152, v55 :: v_dual_add_f32 v14, v49, v14
	v_add_f32_e32 v49, v121, v54
	v_add_f32_e32 v18, v72, v18
	;; [unrolled: 1-line block ×8, first 2 shown]
	v_dual_add_f32 v40, v155, v40 :: v_dual_add_f32 v45, v156, v45
	v_dual_add_f32 v47, v157, v53 :: v_dual_add_f32 v16, v48, v16
	v_add_f32_e32 v48, v158, v55
	v_add_f32_e32 v46, v85, v46
	v_add_f32_e32 v22, v83, v22
	v_add_f32_e32 v44, v84, v44
	v_add_f32_e32 v12, v12, v127
	v_add_f32_e32 v18, v82, v18
	ds_store_2addr_b32 v112, v20, v40 offset0:8 offset1:12
	ds_store_2addr_b32 v112, v45, v47 offset0:16 offset1:20
	;; [unrolled: 1-line block ×5, first 2 shown]
	ds_store_2addr_b32 v112, v12, v16 offset1:4
	ds_store_b32 v112, v18 offset:192
	s_and_saveexec_b32 s1, s0
	s_cbranch_execz .LBB0_33
; %bb.32:
	v_dual_sub_f32 v12, v51, v10 :: v_dual_sub_f32 v45, v8, v4
	v_sub_f32_e32 v40, v42, v6
	v_add_f32_e32 v14, v113, v114
	v_dual_sub_f32 v18, v50, v43 :: v_dual_sub_f32 v57, v1, v0
	s_delay_alu instid0(VALU_DEP_4) | instskip(NEXT) | instid1(VALU_DEP_4)
	v_mul_f32_e32 v22, 0xbe750f2a, v12
	v_dual_mul_f32 v53, 0xbf29c268, v40 :: v_dual_add_f32 v16, v110, v111
	v_dual_sub_f32 v49, v3, v2 :: v_dual_add_f32 v20, v108, v109
	v_add_f32_e32 v55, v5, v7
	s_delay_alu instid0(VALU_DEP_4)
	v_fma_f32 v47, 0xbf788fa5, v14, -v22
	v_add_f32_e32 v44, v106, v107
	v_add_f32_e32 v48, v9, v11
	v_fma_f32 v59, 0xbf3f9e67, v20, -v53
	v_fmac_f32_e32 v53, 0xbf3f9e67, v20
	v_dual_add_f32 v47, v36, v47 :: v_dual_mul_f32 v46, 0x3eedf032, v18
	v_dual_mul_f32 v68, 0xbe750f2a, v18 :: v_dual_add_f32 v71, v36, v113
	s_delay_alu instid0(VALU_DEP_2) | instskip(NEXT) | instid1(VALU_DEP_1)
	v_fma_f32 v54, 0x3f62ad3f, v16, -v46
	v_dual_add_f32 v47, v54, v47 :: v_dual_fmac_f32 v46, 0x3f62ad3f, v16
	s_delay_alu instid0(VALU_DEP_1) | instskip(SKIP_3) | instid1(VALU_DEP_4)
	v_dual_add_f32 v47, v59, v47 :: v_dual_mul_f32 v58, 0x3f52af12, v45
	v_mul_f32_e32 v59, 0xbf29c268, v12
	v_mul_f32_e32 v67, 0x3eedf032, v40
	;; [unrolled: 1-line block ×3, first 2 shown]
	v_fma_f32 v60, 0x3f116cb1, v44, -v58
	s_delay_alu instid0(VALU_DEP_1) | instskip(SKIP_3) | instid1(VALU_DEP_2)
	v_add_f32_e32 v47, v60, v47
	v_fma_f32 v60, 0xbf3f9e67, v14, -v59
	v_mul_f32_e32 v54, 0xbf6f5d39, v49
	v_fmac_f32_e32 v59, 0xbf3f9e67, v14
	v_fma_f32 v61, 0xbeb58ec6, v48, -v54
	s_delay_alu instid0(VALU_DEP_2) | instskip(NEXT) | instid1(VALU_DEP_2)
	v_dual_fmac_f32 v22, 0xbf788fa5, v14 :: v_dual_add_f32 v59, v36, v59
	v_dual_fmac_f32 v58, 0x3f116cb1, v44 :: v_dual_add_f32 v47, v61, v47
	s_delay_alu instid0(VALU_DEP_2) | instskip(NEXT) | instid1(VALU_DEP_1)
	v_dual_add_f32 v22, v36, v22 :: v_dual_mul_f32 v61, 0xbf52af12, v40
	v_add_f32_e32 v22, v46, v22
	v_mul_f32_e32 v46, 0x3f7e222b, v57
	s_delay_alu instid0(VALU_DEP_1) | instskip(NEXT) | instid1(VALU_DEP_1)
	v_fma_f32 v65, 0x3df6dbef, v55, -v46
	v_add_f32_e32 v47, v65, v47
	s_delay_alu instid0(VALU_DEP_4) | instskip(NEXT) | instid1(VALU_DEP_1)
	v_dual_add_f32 v22, v53, v22 :: v_dual_add_f32 v53, v36, v60
	v_add_f32_e32 v22, v58, v22
	v_fma_f32 v58, 0x3f116cb1, v20, -v61
	v_fmac_f32_e32 v61, 0x3f116cb1, v20
	v_mul_f32_e32 v64, 0x3f7e222b, v18
	s_delay_alu instid0(VALU_DEP_1) | instskip(NEXT) | instid1(VALU_DEP_1)
	v_fma_f32 v60, 0x3df6dbef, v16, -v64
	v_add_f32_e32 v53, v60, v53
	v_mul_f32_e32 v60, 0x3e750f2a, v45
	s_delay_alu instid0(VALU_DEP_2) | instskip(NEXT) | instid1(VALU_DEP_1)
	v_dual_add_f32 v53, v58, v53 :: v_dual_fmac_f32 v64, 0x3df6dbef, v16
	v_dual_add_f32 v59, v64, v59 :: v_dual_fmac_f32 v54, 0xbeb58ec6, v48
	s_delay_alu instid0(VALU_DEP_1) | instskip(NEXT) | instid1(VALU_DEP_4)
	v_dual_add_f32 v59, v61, v59 :: v_dual_add_f32 v22, v54, v22
	v_fma_f32 v54, 0xbf788fa5, v44, -v60
	v_fmac_f32_e32 v60, 0xbf788fa5, v44
	v_mul_f32_e32 v58, 0x3eedf032, v49
	s_delay_alu instid0(VALU_DEP_3) | instskip(NEXT) | instid1(VALU_DEP_3)
	v_add_f32_e32 v53, v54, v53
	v_add_f32_e32 v59, v60, v59
	s_delay_alu instid0(VALU_DEP_3) | instskip(SKIP_1) | instid1(VALU_DEP_2)
	v_fma_f32 v54, 0x3f62ad3f, v48, -v58
	v_fmac_f32_e32 v46, 0x3df6dbef, v55
	v_dual_fmac_f32 v58, 0x3f62ad3f, v48 :: v_dual_add_f32 v53, v54, v53
	v_mul_f32_e32 v54, 0xbf6f5d39, v57
	s_delay_alu instid0(VALU_DEP_2) | instskip(NEXT) | instid1(VALU_DEP_2)
	v_add_f32_e32 v58, v58, v59
	v_fma_f32 v61, 0xbeb58ec6, v55, -v54
	s_delay_alu instid0(VALU_DEP_1) | instskip(SKIP_4) | instid1(VALU_DEP_2)
	v_add_f32_e32 v53, v61, v53
	v_fma_f32 v61, 0x3f62ad3f, v20, -v67
	v_add_f32_e32 v22, v46, v22
	v_mul_f32_e32 v46, 0xbf6f5d39, v12
	v_fmac_f32_e32 v67, 0x3f62ad3f, v20
	v_fma_f32 v64, 0xbeb58ec6, v14, -v46
	v_fmac_f32_e32 v46, 0xbeb58ec6, v14
	s_delay_alu instid0(VALU_DEP_2) | instskip(NEXT) | instid1(VALU_DEP_1)
	v_dual_add_f32 v64, v36, v64 :: v_dual_mul_f32 v65, 0x3f29c268, v18
	v_fma_f32 v66, 0xbf3f9e67, v16, -v65
	s_delay_alu instid0(VALU_DEP_1) | instskip(NEXT) | instid1(VALU_DEP_4)
	v_add_f32_e32 v60, v66, v64
	v_dual_add_f32 v46, v36, v46 :: v_dual_fmac_f32 v65, 0xbf3f9e67, v16
	s_delay_alu instid0(VALU_DEP_2) | instskip(NEXT) | instid1(VALU_DEP_2)
	v_dual_mul_f32 v64, 0xbf7e222b, v45 :: v_dual_add_f32 v59, v61, v60
	v_dual_mul_f32 v61, 0x3e750f2a, v49 :: v_dual_add_f32 v46, v65, v46
	s_delay_alu instid0(VALU_DEP_2) | instskip(SKIP_1) | instid1(VALU_DEP_3)
	v_fma_f32 v60, 0x3df6dbef, v44, -v64
	v_fmac_f32_e32 v64, 0x3df6dbef, v44
	v_dual_add_f32 v46, v67, v46 :: v_dual_mul_f32 v67, 0x3f6f5d39, v40
	v_fmac_f32_e32 v54, 0xbeb58ec6, v55
	v_mul_f32_e32 v40, 0xbf7e222b, v40
	s_delay_alu instid0(VALU_DEP_3) | instskip(NEXT) | instid1(VALU_DEP_4)
	v_add_f32_e32 v46, v64, v46
	v_fma_f32 v64, 0xbeb58ec6, v20, -v67
	s_delay_alu instid0(VALU_DEP_4) | instskip(SKIP_4) | instid1(VALU_DEP_3)
	v_dual_fmac_f32 v67, 0xbeb58ec6, v20 :: v_dual_add_f32 v54, v54, v58
	v_add_f32_e32 v58, v60, v59
	v_fma_f32 v59, 0xbf788fa5, v48, -v61
	v_mul_f32_e32 v60, 0x3f52af12, v57
	v_mul_f32_e32 v66, 0xbf7e222b, v12
	v_dual_fmac_f32 v61, 0xbf788fa5, v48 :: v_dual_add_f32 v58, v59, v58
	s_delay_alu instid0(VALU_DEP_3) | instskip(NEXT) | instid1(VALU_DEP_3)
	v_fma_f32 v59, 0x3f116cb1, v55, -v60
	v_fma_f32 v65, 0x3df6dbef, v14, -v66
	v_fmac_f32_e32 v66, 0x3df6dbef, v14
	s_delay_alu instid0(VALU_DEP_4) | instskip(NEXT) | instid1(VALU_DEP_3)
	v_add_f32_e32 v46, v61, v46
	v_dual_add_f32 v58, v59, v58 :: v_dual_add_f32 v59, v36, v65
	v_fma_f32 v65, 0xbf788fa5, v16, -v68
	s_delay_alu instid0(VALU_DEP_4) | instskip(NEXT) | instid1(VALU_DEP_2)
	v_dual_add_f32 v61, v36, v66 :: v_dual_mul_f32 v66, 0xbf52af12, v49
	v_dual_fmac_f32 v68, 0xbf788fa5, v16 :: v_dual_add_f32 v59, v65, v59
	v_mul_f32_e32 v65, 0x3eedf032, v45
	s_delay_alu instid0(VALU_DEP_2) | instskip(NEXT) | instid1(VALU_DEP_3)
	v_dual_add_f32 v61, v68, v61 :: v_dual_mul_f32 v68, 0xbf6f5d39, v18
	v_add_f32_e32 v59, v64, v59
	s_delay_alu instid0(VALU_DEP_3) | instskip(SKIP_1) | instid1(VALU_DEP_4)
	v_fma_f32 v64, 0x3f62ad3f, v44, -v65
	v_fmac_f32_e32 v65, 0x3f62ad3f, v44
	v_add_f32_e32 v61, v67, v61
	v_fma_f32 v69, 0xbeb58ec6, v16, -v68
	s_delay_alu instid0(VALU_DEP_4) | instskip(SKIP_1) | instid1(VALU_DEP_4)
	v_dual_mul_f32 v18, 0xbf52af12, v18 :: v_dual_add_f32 v59, v64, v59
	v_fma_f32 v64, 0x3f116cb1, v48, -v66
	v_dual_add_f32 v61, v65, v61 :: v_dual_fmac_f32 v66, 0x3f116cb1, v48
	s_delay_alu instid0(VALU_DEP_2) | instskip(SKIP_2) | instid1(VALU_DEP_2)
	v_add_f32_e32 v59, v64, v59
	v_fmac_f32_e32 v60, 0x3f116cb1, v55
	v_mul_f32_e32 v64, 0xbf29c268, v57
	v_dual_add_f32 v61, v66, v61 :: v_dual_add_f32 v46, v60, v46
	v_mul_f32_e32 v60, 0xbf52af12, v12
	s_delay_alu instid0(VALU_DEP_3) | instskip(SKIP_1) | instid1(VALU_DEP_3)
	v_fma_f32 v65, 0xbf3f9e67, v55, -v64
	v_mul_f32_e32 v12, 0xbeedf032, v12
	v_fma_f32 v67, 0x3f116cb1, v14, -v60
	s_delay_alu instid0(VALU_DEP_1) | instskip(NEXT) | instid1(VALU_DEP_1)
	v_dual_fmac_f32 v60, 0x3f116cb1, v14 :: v_dual_add_f32 v67, v36, v67
	v_add_f32_e32 v60, v36, v60
	s_delay_alu instid0(VALU_DEP_2)
	v_dual_add_f32 v66, v69, v67 :: v_dual_mul_f32 v69, 0x3f29c268, v45
	v_mul_f32_e32 v45, 0xbf6f5d39, v45
	v_fmac_f32_e32 v68, 0xbeb58ec6, v16
	v_fmac_f32_e32 v64, 0xbf3f9e67, v55
	v_fma_f32 v67, 0xbf788fa5, v20, -v70
	v_fmac_f32_e32 v70, 0xbf788fa5, v20
	s_delay_alu instid0(VALU_DEP_4) | instskip(NEXT) | instid1(VALU_DEP_3)
	v_add_f32_e32 v60, v68, v60
	v_dual_add_f32 v61, v64, v61 :: v_dual_add_f32 v64, v67, v66
	v_fma_f32 v66, 0xbf3f9e67, v44, -v69
	v_fmac_f32_e32 v69, 0xbf3f9e67, v44
	s_delay_alu instid0(VALU_DEP_4) | instskip(SKIP_1) | instid1(VALU_DEP_2)
	v_dual_add_f32 v60, v70, v60 :: v_dual_mul_f32 v67, 0x3f7e222b, v49
	v_dual_add_f32 v68, v71, v110 :: v_dual_mul_f32 v71, 0x3eedf032, v57
	v_add_f32_e32 v60, v69, v60
	v_fma_f32 v69, 0x3f62ad3f, v14, -v12
	v_fmac_f32_e32 v12, 0x3f62ad3f, v14
	v_fma_f32 v14, 0x3f116cb1, v16, -v18
	v_fmac_f32_e32 v18, 0x3f116cb1, v16
	s_delay_alu instid0(VALU_DEP_4) | instskip(NEXT) | instid1(VALU_DEP_4)
	v_add_f32_e32 v16, v36, v69
	v_add_f32_e32 v12, v36, v12
	s_delay_alu instid0(VALU_DEP_2)
	v_add_f32_e32 v14, v14, v16
	v_fma_f32 v16, 0xbeb58ec6, v44, -v45
	v_fmac_f32_e32 v45, 0xbeb58ec6, v44
	v_add_f32_e32 v64, v66, v64
	v_fma_f32 v66, 0x3df6dbef, v48, -v67
	v_add_f32_e32 v12, v18, v12
	v_mul_lo_u32 v44, v34, 52
	v_fmac_f32_e32 v67, 0x3df6dbef, v48
	s_delay_alu instid0(VALU_DEP_4) | instskip(SKIP_2) | instid1(VALU_DEP_2)
	v_add_f32_e32 v64, v66, v64
	v_add_f32_e32 v66, v68, v108
	v_fma_f32 v68, 0x3f62ad3f, v55, -v71
	v_dual_fmac_f32 v71, 0x3f62ad3f, v55 :: v_dual_add_f32 v66, v66, v106
	s_delay_alu instid0(VALU_DEP_1) | instskip(NEXT) | instid1(VALU_DEP_1)
	v_add_f32_e32 v66, v66, v9
	v_add_f32_e32 v36, v66, v5
	v_fma_f32 v66, 0x3df6dbef, v20, -v40
	v_fmac_f32_e32 v40, 0x3df6dbef, v20
	v_mul_f32_e32 v20, 0xbf29c268, v49
	s_delay_alu instid0(VALU_DEP_4) | instskip(NEXT) | instid1(VALU_DEP_4)
	v_add_f32_e32 v18, v36, v7
	v_add_f32_e32 v14, v66, v14
	s_delay_alu instid0(VALU_DEP_4) | instskip(NEXT) | instid1(VALU_DEP_4)
	v_add_f32_e32 v12, v40, v12
	v_fma_f32 v36, 0xbf3f9e67, v48, -v20
	v_mul_f32_e32 v40, 0xbe750f2a, v57
	v_add_f32_e32 v18, v18, v11
	v_fmac_f32_e32 v20, 0xbf3f9e67, v48
	v_add_f32_e32 v12, v45, v12
	v_add_f32_e32 v14, v16, v14
	v_fma_f32 v16, 0xbf788fa5, v55, -v40
	v_add_f32_e32 v18, v18, v107
	v_fmac_f32_e32 v40, 0xbf788fa5, v55
	v_add_f32_e32 v12, v20, v12
	v_or_b32_e32 v20, v44, v30
	s_delay_alu instid0(VALU_DEP_4) | instskip(SKIP_1) | instid1(VALU_DEP_4)
	v_dual_add_f32 v45, v67, v60 :: v_dual_add_f32 v18, v18, v109
	v_add_f32_e32 v14, v36, v14
	v_add_f32_e32 v12, v40, v12
	s_delay_alu instid0(VALU_DEP_4) | instskip(NEXT) | instid1(VALU_DEP_4)
	v_lshl_add_u32 v20, v20, 2, 0
	v_add_f32_e32 v36, v71, v45
	v_add_f32_e32 v18, v18, v111
	;; [unrolled: 1-line block ×5, first 2 shown]
	s_delay_alu instid0(VALU_DEP_4)
	v_add_f32_e32 v18, v18, v114
	ds_store_2addr_b32 v20, v18, v12 offset1:4
	ds_store_2addr_b32 v20, v36, v61 offset0:8 offset1:12
	ds_store_2addr_b32 v20, v46, v54 offset0:16 offset1:20
	;; [unrolled: 1-line block ×5, first 2 shown]
	ds_store_b32 v20, v14 offset:192
.LBB0_33:
	s_wait_alu 0xfffe
	s_or_b32 exec_lo, exec_lo, s1
	v_add_f32_e32 v18, v63, v52
	v_add_f32_e32 v14, v56, v41
	v_sub_f32_e32 v16, v126, v127
	global_wb scope:SCOPE_SE
	s_wait_dscnt 0x0
	s_barrier_signal -1
	v_mul_f32_e32 v49, 0xbf3f9e67, v18
	v_dual_mul_f32 v47, 0xbeb58ec6, v18 :: v_dual_add_f32 v12, v38, v56
	v_dual_mul_f32 v45, 0xbf3f9e67, v14 :: v_dual_sub_f32 v20, v124, v125
	v_mul_f32_e32 v22, 0x3f62ad3f, v14
	s_barrier_wait -1
	global_inv scope:SCOPE_SE
	v_fmamk_f32 v57, v16, 0x3f29c268, v45
	v_dual_fmac_f32 v45, 0xbf29c268, v16 :: v_dual_add_f32 v12, v12, v63
	v_fmamk_f32 v59, v20, 0x3f6f5d39, v47
	v_fmac_f32_e32 v47, 0xbf6f5d39, v20
	s_delay_alu instid0(VALU_DEP_4) | instskip(NEXT) | instid1(VALU_DEP_4)
	v_dual_mul_f32 v40, 0x3df6dbef, v14 :: v_dual_add_f32 v57, v38, v57
	v_add_f32_e32 v12, v12, v62
	v_dual_mul_f32 v44, 0xbeb58ec6, v14 :: v_dual_add_f32 v45, v38, v45
	v_fmamk_f32 v53, v16, 0x3eedf032, v22
	v_mul_f32_e32 v46, 0x3f116cb1, v18
	s_delay_alu instid0(VALU_DEP_4)
	v_add_f32_e32 v12, v12, v21
	v_fmamk_f32 v55, v16, 0x3f7e222b, v40
	v_fmac_f32_e32 v40, 0xbf7e222b, v16
	v_fmamk_f32 v56, v16, 0x3f6f5d39, v44
	v_mul_f32_e32 v36, 0x3f116cb1, v14
	v_dual_add_f32 v12, v12, v17 :: v_dual_add_f32 v17, v17, v19
	s_delay_alu instid0(VALU_DEP_4) | instskip(NEXT) | instid1(VALU_DEP_4)
	v_add_f32_e32 v40, v38, v40
	v_add_f32_e32 v56, v38, v56
	;; [unrolled: 1-line block ×3, first 2 shown]
	s_delay_alu instid0(VALU_DEP_4) | instskip(SKIP_2) | instid1(VALU_DEP_3)
	v_add_f32_e32 v12, v12, v13
	v_dual_fmac_f32 v44, 0xbf6f5d39, v16 :: v_dual_add_f32 v21, v21, v23
	v_add_f32_e32 v13, v13, v15
	v_add_f32_e32 v12, v12, v15
	s_delay_alu instid0(VALU_DEP_2) | instskip(SKIP_1) | instid1(VALU_DEP_3)
	v_mul_f32_e32 v72, 0x3df6dbef, v13
	v_mul_f32_e32 v64, 0x3f116cb1, v13
	v_dual_add_f32 v12, v12, v19 :: v_dual_mul_f32 v67, 0xbeb58ec6, v13
	s_delay_alu instid0(VALU_DEP_1) | instskip(NEXT) | instid1(VALU_DEP_1)
	v_add_f32_e32 v12, v12, v23
	v_add_f32_e32 v12, v12, v39
	s_delay_alu instid0(VALU_DEP_1) | instskip(NEXT) | instid1(VALU_DEP_1)
	v_dual_add_f32 v39, v62, v39 :: v_dual_add_f32 v12, v12, v52
	v_add_f32_e32 v60, v12, v41
	v_fmamk_f32 v41, v20, 0xbf29c268, v49
	v_mul_f32_e32 v14, 0xbf788fa5, v14
	v_fmac_f32_e32 v49, 0x3f29c268, v20
	s_delay_alu instid0(VALU_DEP_3) | instskip(SKIP_1) | instid1(VALU_DEP_4)
	v_add_f32_e32 v41, v41, v56
	v_fmac_f32_e32 v22, 0xbeedf032, v16
	v_fmamk_f32 v58, v16, 0x3e750f2a, v14
	v_fmac_f32_e32 v14, 0xbe750f2a, v16
	s_delay_alu instid0(VALU_DEP_3)
	v_add_f32_e32 v22, v38, v22
	v_dual_add_f32 v55, v38, v55 :: v_dual_fmamk_f32 v54, v16, 0x3f52af12, v36
	v_fmac_f32_e32 v36, 0xbf52af12, v16
	v_fmamk_f32 v16, v20, 0x3f52af12, v46
	v_fmac_f32_e32 v46, 0xbf52af12, v20
	v_add_f32_e32 v14, v38, v14
	v_add_f32_e32 v54, v38, v54
	;; [unrolled: 1-line block ×5, first 2 shown]
	v_mul_f32_e32 v46, 0x3df6dbef, v18
	s_delay_alu instid0(VALU_DEP_1) | instskip(SKIP_3) | instid1(VALU_DEP_4)
	v_dual_add_f32 v36, v47, v36 :: v_dual_fmamk_f32 v47, v20, 0xbf7e222b, v46
	v_mul_f32_e32 v48, 0xbf788fa5, v18
	v_mul_f32_e32 v18, 0x3f62ad3f, v18
	v_add_f32_e32 v44, v38, v44
	v_dual_fmac_f32 v46, 0x3f7e222b, v20 :: v_dual_add_f32 v47, v47, v57
	s_delay_alu instid0(VALU_DEP_2)
	v_dual_fmamk_f32 v53, v20, 0xbeedf032, v18 :: v_dual_add_f32 v44, v49, v44
	v_dual_mul_f32 v49, 0x3df6dbef, v39 :: v_dual_add_f32 v52, v38, v58
	v_fmamk_f32 v38, v20, 0x3e750f2a, v48
	v_fmac_f32_e32 v48, 0xbe750f2a, v20
	v_fmac_f32_e32 v18, 0x3eedf032, v20
	v_add_f32_e32 v20, v46, v45
	v_mul_f32_e32 v46, 0xbf788fa5, v39
	v_add_f32_e32 v38, v38, v55
	v_add_f32_e32 v40, v48, v40
	v_sub_f32_e32 v48, v122, v123
	s_delay_alu instid0(VALU_DEP_1) | instskip(SKIP_3) | instid1(VALU_DEP_4)
	v_dual_add_f32 v14, v18, v14 :: v_dual_fmamk_f32 v45, v48, 0x3f7e222b, v49
	v_fmac_f32_e32 v49, 0xbf7e222b, v48
	v_fmamk_f32 v18, v48, 0x3e750f2a, v46
	v_fmac_f32_e32 v46, 0xbe750f2a, v48
	v_add_f32_e32 v16, v45, v16
	s_delay_alu instid0(VALU_DEP_4) | instskip(NEXT) | instid1(VALU_DEP_3)
	v_dual_add_f32 v22, v49, v22 :: v_dual_mul_f32 v49, 0x3f62ad3f, v39
	v_dual_add_f32 v36, v46, v36 :: v_dual_mul_f32 v45, 0xbeb58ec6, v39
	s_delay_alu instid0(VALU_DEP_2) | instskip(SKIP_1) | instid1(VALU_DEP_1)
	v_fmamk_f32 v46, v48, 0xbeedf032, v49
	v_fmac_f32_e32 v49, 0x3eedf032, v48
	v_dual_add_f32 v41, v46, v41 :: v_dual_add_f32 v44, v49, v44
	v_add_f32_e32 v12, v59, v54
	v_mul_f32_e32 v46, 0xbeb58ec6, v21
	s_delay_alu instid0(VALU_DEP_2) | instskip(SKIP_1) | instid1(VALU_DEP_1)
	v_dual_add_f32 v12, v18, v12 :: v_dual_add_nc_u32 v59, 0xe00, v97
	v_fmamk_f32 v18, v48, 0xbf6f5d39, v45
	v_dual_fmac_f32 v45, 0x3f6f5d39, v48 :: v_dual_add_f32 v18, v18, v38
	v_mul_f32_e32 v38, 0x3f116cb1, v39
	s_delay_alu instid0(VALU_DEP_2) | instskip(SKIP_1) | instid1(VALU_DEP_3)
	v_dual_add_f32 v40, v45, v40 :: v_dual_mul_f32 v39, 0xbf3f9e67, v39
	v_sub_f32_e32 v45, v119, v120
	v_fmamk_f32 v23, v48, 0x3f52af12, v38
	s_delay_alu instid0(VALU_DEP_1) | instskip(NEXT) | instid1(VALU_DEP_4)
	v_dual_fmac_f32 v38, 0xbf52af12, v48 :: v_dual_add_f32 v23, v23, v47
	v_fmamk_f32 v47, v48, 0x3f29c268, v39
	v_fmac_f32_e32 v39, 0xbf29c268, v48
	s_delay_alu instid0(VALU_DEP_3) | instskip(SKIP_4) | instid1(VALU_DEP_4)
	v_add_f32_e32 v20, v38, v20
	v_fmamk_f32 v38, v45, 0x3f6f5d39, v46
	v_mul_f32_e32 v48, 0xbf3f9e67, v21
	v_fmac_f32_e32 v46, 0xbf6f5d39, v45
	v_dual_add_f32 v14, v39, v14 :: v_dual_mul_f32 v39, 0x3f62ad3f, v21
	v_add_f32_e32 v16, v38, v16
	s_delay_alu instid0(VALU_DEP_4) | instskip(SKIP_3) | instid1(VALU_DEP_4)
	v_fmamk_f32 v38, v45, 0xbf29c268, v48
	v_fmac_f32_e32 v48, 0x3f29c268, v45
	v_add_f32_e32 v22, v46, v22
	v_mul_f32_e32 v46, 0x3df6dbef, v21
	v_add_f32_e32 v12, v38, v12
	v_fmamk_f32 v38, v45, 0xbeedf032, v39
	v_dual_add_f32 v36, v48, v36 :: v_dual_fmac_f32 v39, 0x3eedf032, v45
	s_delay_alu instid0(VALU_DEP_4) | instskip(SKIP_1) | instid1(VALU_DEP_4)
	v_fmamk_f32 v48, v45, 0x3f7e222b, v46
	v_fmac_f32_e32 v46, 0xbf7e222b, v45
	v_add_f32_e32 v18, v38, v18
	s_delay_alu instid0(VALU_DEP_4) | instskip(NEXT) | instid1(VALU_DEP_3)
	v_dual_mul_f32 v38, 0xbf788fa5, v21 :: v_dual_add_f32 v39, v39, v40
	v_dual_add_f32 v40, v48, v41 :: v_dual_add_f32 v41, v46, v44
	v_mul_f32_e32 v21, 0x3f116cb1, v21
	s_delay_alu instid0(VALU_DEP_3) | instskip(SKIP_2) | instid1(VALU_DEP_3)
	v_fmamk_f32 v19, v45, 0xbe750f2a, v38
	v_fmac_f32_e32 v38, 0x3e750f2a, v45
	v_sub_f32_e32 v44, v117, v118
	v_dual_mul_f32 v46, 0xbf3f9e67, v17 :: v_dual_add_f32 v19, v19, v23
	v_fmamk_f32 v23, v45, 0xbf52af12, v21
	s_delay_alu instid0(VALU_DEP_4) | instskip(NEXT) | instid1(VALU_DEP_3)
	v_dual_fmac_f32 v21, 0x3f52af12, v45 :: v_dual_add_f32 v20, v38, v20
	v_fmamk_f32 v38, v44, 0x3f29c268, v46
	v_mul_f32_e32 v45, 0x3df6dbef, v17
	v_fmac_f32_e32 v46, 0xbf29c268, v44
	s_delay_alu instid0(VALU_DEP_4) | instskip(NEXT) | instid1(VALU_DEP_3)
	v_add_f32_e32 v14, v21, v14
	v_dual_add_f32 v16, v38, v16 :: v_dual_fmamk_f32 v21, v44, 0xbf7e222b, v45
	v_mul_f32_e32 v38, 0x3f116cb1, v17
	v_add_f32_e32 v52, v53, v52
	v_dual_fmac_f32 v45, 0x3f7e222b, v44 :: v_dual_add_f32 v22, v46, v22
	s_delay_alu instid0(VALU_DEP_3) | instskip(NEXT) | instid1(VALU_DEP_3)
	v_dual_add_f32 v12, v21, v12 :: v_dual_fmamk_f32 v21, v44, 0x3f52af12, v38
	v_dual_add_f32 v47, v47, v52 :: v_dual_mul_f32 v46, 0xbf788fa5, v17
	s_delay_alu instid0(VALU_DEP_3) | instskip(SKIP_1) | instid1(VALU_DEP_4)
	v_add_f32_e32 v36, v45, v36
	v_fmac_f32_e32 v38, 0xbf52af12, v44
	v_dual_add_f32 v18, v21, v18 :: v_dual_mul_f32 v21, 0x3f62ad3f, v17
	v_mul_f32_e32 v17, 0xbeb58ec6, v17
	v_add_f32_e32 v23, v23, v47
	v_fmamk_f32 v45, v44, 0xbe750f2a, v46
	v_sub_f32_e32 v47, v115, v116
	v_fmamk_f32 v15, v44, 0xbeedf032, v21
	v_fmac_f32_e32 v21, 0x3eedf032, v44
	v_fmac_f32_e32 v46, 0x3e750f2a, v44
	v_dual_add_f32 v38, v38, v39 :: v_dual_add_f32 v39, v45, v40
	s_delay_alu instid0(VALU_DEP_4) | instskip(NEXT) | instid1(VALU_DEP_4)
	v_dual_add_f32 v48, v15, v19 :: v_dual_fmamk_f32 v15, v44, 0x3f6f5d39, v17
	v_add_f32_e32 v49, v21, v20
	v_fmac_f32_e32 v17, 0xbf6f5d39, v44
	v_mul_f32_e32 v20, 0x3f62ad3f, v13
	v_mul_f32_e32 v40, 0xbf788fa5, v13
	v_dual_add_f32 v44, v15, v23 :: v_dual_mul_f32 v15, 0xbf3f9e67, v13
	s_delay_alu instid0(VALU_DEP_3) | instskip(SKIP_1) | instid1(VALU_DEP_4)
	v_dual_add_f32 v61, v17, v14 :: v_dual_fmamk_f32 v14, v47, 0xbeedf032, v20
	v_fmac_f32_e32 v20, 0x3eedf032, v47
	v_fmamk_f32 v19, v47, 0x3e750f2a, v40
	v_fmac_f32_e32 v40, 0xbe750f2a, v47
	v_add_nc_u32_e32 v53, 0xc00, v97
	v_dual_add_f32 v65, v14, v12 :: v_dual_fmamk_f32 v12, v47, 0x3f29c268, v15
	v_fmac_f32_e32 v15, 0xbf29c268, v47
	v_fmamk_f32 v14, v47, 0xbf52af12, v64
	v_add_nc_u32_e32 v52, 0x400, v97
	v_add_f32_e32 v45, v46, v41
	v_add_nc_u32_e32 v46, 0x600, v97
	v_add_f32_e32 v66, v20, v36
	v_add_nc_u32_e32 v36, 0x800, v97
	v_dual_add_f32 v62, v19, v16 :: v_dual_add_f32 v63, v40, v22
	v_add_f32_e32 v68, v12, v18
	v_dual_add_f32 v69, v15, v38 :: v_dual_add_f32 v70, v14, v39
	ds_load_2addr_b32 v[38:39], v97 offset1:208
	ds_load_b32 v57, v104
	ds_load_b32 v56, v27
	ds_load_2addr_b32 v[12:13], v36 offset0:60 offset1:112
	ds_load_2addr_b32 v[40:41], v53 offset0:12 offset1:64
	;; [unrolled: 1-line block ×3, first 2 shown]
	ds_load_b32 v55, v98
	ds_load_2addr_b32 v[22:23], v52 offset0:4 offset1:108
	ds_load_2addr_b32 v[20:21], v46 offset0:32 offset1:136
	;; [unrolled: 1-line block ×4, first 2 shown]
	ds_load_b32 v58, v100
	ds_load_b32 v54, v99
	v_fmamk_f32 v71, v47, 0x3f6f5d39, v67
	v_fmac_f32_e32 v67, 0xbf6f5d39, v47
	v_fmamk_f32 v73, v47, 0xbf7e222b, v72
	v_fmac_f32_e32 v72, 0x3f7e222b, v47
	s_delay_alu instid0(VALU_DEP_4) | instskip(NEXT) | instid1(VALU_DEP_4)
	v_dual_fmac_f32 v64, 0x3f52af12, v47 :: v_dual_add_f32 v47, v71, v48
	v_add_f32_e32 v48, v67, v49
	s_delay_alu instid0(VALU_DEP_3) | instskip(NEXT) | instid1(VALU_DEP_3)
	v_dual_add_f32 v44, v73, v44 :: v_dual_add_f32 v49, v72, v61
	v_add_f32_e32 v45, v64, v45
	global_wb scope:SCOPE_SE
	s_wait_dscnt 0x0
	s_barrier_signal -1
	s_barrier_wait -1
	global_inv scope:SCOPE_SE
	ds_store_2addr_b32 v112, v60, v62 offset1:4
	ds_store_2addr_b32 v112, v65, v68 offset0:8 offset1:12
	ds_store_2addr_b32 v112, v70, v47 offset0:16 offset1:20
	ds_store_2addr_b32 v112, v44, v49 offset0:24 offset1:28
	ds_store_2addr_b32 v112, v48, v45 offset0:32 offset1:36
	ds_store_2addr_b32 v112, v69, v66 offset0:40 offset1:44
	ds_store_b32 v112, v63 offset:192
	s_and_saveexec_b32 s1, s0
	s_cbranch_execz .LBB0_35
; %bb.34:
	v_dual_add_f32 v44, v32, v51 :: v_dual_add_f32 v45, v51, v10
	v_sub_f32_e32 v49, v110, v111
	v_dual_sub_f32 v47, v113, v114 :: v_dual_add_f32 v48, v50, v43
	s_delay_alu instid0(VALU_DEP_3) | instskip(SKIP_2) | instid1(VALU_DEP_4)
	v_dual_add_f32 v44, v44, v50 :: v_dual_mul_f32 v51, 0x3f116cb1, v45
	v_mul_f32_e32 v61, 0xbeb58ec6, v45
	v_mul_f32_e32 v62, 0xbf3f9e67, v45
	;; [unrolled: 1-line block ×3, first 2 shown]
	s_delay_alu instid0(VALU_DEP_4) | instskip(SKIP_3) | instid1(VALU_DEP_4)
	v_dual_add_f32 v44, v44, v42 :: v_dual_fmamk_f32 v67, v47, 0x3f52af12, v51
	v_mul_f32_e32 v50, 0x3f62ad3f, v45
	v_fmac_f32_e32 v51, 0xbf52af12, v47
	v_mul_f32_e32 v60, 0x3df6dbef, v45
	v_dual_mul_f32 v45, 0xbf788fa5, v45 :: v_dual_add_f32 v44, v44, v8
	v_mul_f32_e32 v63, 0x3f116cb1, v48
	v_dual_fmamk_f32 v69, v47, 0x3f6f5d39, v61 :: v_dual_fmamk_f32 v72, v49, 0x3f6f5d39, v64
	v_dual_fmac_f32 v61, 0xbf6f5d39, v47 :: v_dual_fmac_f32 v64, 0xbf6f5d39, v49
	s_delay_alu instid0(VALU_DEP_4) | instskip(SKIP_1) | instid1(VALU_DEP_4)
	v_dual_add_f32 v44, v44, v3 :: v_dual_mul_f32 v65, 0xbf788fa5, v48
	v_mul_lo_u32 v34, v34, 52
	v_add_f32_e32 v69, v32, v69
	s_delay_alu instid0(VALU_DEP_4) | instskip(NEXT) | instid1(VALU_DEP_4)
	v_add_f32_e32 v61, v32, v61
	v_dual_add_f32 v44, v44, v1 :: v_dual_sub_f32 v5, v5, v7
	s_delay_alu instid0(VALU_DEP_1) | instskip(SKIP_2) | instid1(VALU_DEP_3)
	v_add_f32_e32 v44, v44, v0
	v_dual_add_f32 v67, v32, v67 :: v_dual_fmamk_f32 v66, v47, 0x3eedf032, v50
	v_fmac_f32_e32 v50, 0xbeedf032, v47
	v_dual_fmamk_f32 v71, v47, 0x3e750f2a, v45 :: v_dual_add_f32 v44, v44, v2
	v_add_f32_e32 v51, v32, v51
	s_delay_alu instid0(VALU_DEP_4) | instskip(NEXT) | instid1(VALU_DEP_4)
	v_dual_add_f32 v66, v32, v66 :: v_dual_fmac_f32 v45, 0xbe750f2a, v47
	v_add_f32_e32 v50, v32, v50
	s_delay_alu instid0(VALU_DEP_4) | instskip(SKIP_3) | instid1(VALU_DEP_4)
	v_add_f32_e32 v44, v44, v4
	v_dual_add_f32 v71, v32, v71 :: v_dual_fmamk_f32 v70, v47, 0x3f29c268, v62
	v_add_f32_e32 v4, v8, v4
	v_add_f32_e32 v0, v1, v0
	;; [unrolled: 1-line block ×3, first 2 shown]
	v_fmamk_f32 v68, v47, 0x3f7e222b, v60
	v_fmac_f32_e32 v60, 0xbf7e222b, v47
	v_or_b32_e32 v30, v34, v30
	v_mul_f32_e32 v7, 0xbf788fa5, v0
	v_add_f32_e32 v43, v44, v43
	v_add_f32_e32 v68, v32, v68
	v_fmac_f32_e32 v62, 0xbf29c268, v47
	v_dual_fmamk_f32 v47, v49, 0x3f52af12, v63 :: v_dual_add_f32 v60, v32, v60
	s_delay_alu instid0(VALU_DEP_4) | instskip(NEXT) | instid1(VALU_DEP_3)
	v_dual_add_f32 v10, v43, v10 :: v_dual_mul_f32 v43, 0xbf3f9e67, v48
	v_add_f32_e32 v62, v32, v62
	s_delay_alu instid0(VALU_DEP_3) | instskip(SKIP_1) | instid1(VALU_DEP_1)
	v_dual_add_f32 v44, v47, v66 :: v_dual_add_f32 v47, v72, v67
	v_dual_fmac_f32 v63, 0xbf52af12, v49 :: v_dual_add_f32 v70, v32, v70
	v_dual_add_f32 v32, v32, v45 :: v_dual_add_f32 v45, v63, v50
	v_dual_add_f32 v50, v64, v51 :: v_dual_fmamk_f32 v51, v49, 0x3e750f2a, v65
	v_fmac_f32_e32 v65, 0xbe750f2a, v49
	v_mul_f32_e32 v63, 0x3df6dbef, v48
	v_fmamk_f32 v64, v49, 0xbf29c268, v43
	v_fmac_f32_e32 v43, 0x3f29c268, v49
	v_add_f32_e32 v51, v51, v68
	s_delay_alu instid0(VALU_DEP_2)
	v_add_f32_e32 v43, v43, v61
	v_dual_sub_f32 v61, v108, v109 :: v_dual_add_f32 v6, v42, v6
	v_add_f32_e32 v60, v65, v60
	v_fmamk_f32 v65, v49, 0xbf7e222b, v63
	v_mul_f32_e32 v42, 0x3f62ad3f, v48
	v_fmac_f32_e32 v63, 0x3f7e222b, v49
	v_add_f32_e32 v64, v64, v69
	s_delay_alu instid0(VALU_DEP_4) | instskip(SKIP_3) | instid1(VALU_DEP_3)
	v_add_f32_e32 v48, v65, v70
	v_mul_f32_e32 v65, 0x3df6dbef, v6
	v_fmamk_f32 v66, v49, 0xbeedf032, v42
	v_dual_fmac_f32 v42, 0x3eedf032, v49 :: v_dual_add_f32 v49, v63, v62
	v_fmamk_f32 v63, v61, 0x3f7e222b, v65
	v_mul_f32_e32 v62, 0xbf788fa5, v6
	s_delay_alu instid0(VALU_DEP_3) | instskip(NEXT) | instid1(VALU_DEP_3)
	v_dual_add_f32 v32, v42, v32 :: v_dual_fmac_f32 v65, 0xbf7e222b, v61
	v_add_f32_e32 v44, v63, v44
	s_delay_alu instid0(VALU_DEP_3) | instskip(SKIP_1) | instid1(VALU_DEP_4)
	v_fmamk_f32 v42, v61, 0x3e750f2a, v62
	v_mul_f32_e32 v63, 0xbeb58ec6, v6
	v_add_f32_e32 v45, v65, v45
	s_delay_alu instid0(VALU_DEP_3) | instskip(SKIP_1) | instid1(VALU_DEP_1)
	v_dual_mul_f32 v65, 0x3f116cb1, v6 :: v_dual_add_f32 v42, v42, v47
	v_mul_f32_e32 v47, 0x3f62ad3f, v6
	v_fmamk_f32 v67, v61, 0xbeedf032, v47
	v_fmac_f32_e32 v47, 0x3eedf032, v61
	s_delay_alu instid0(VALU_DEP_1) | instskip(SKIP_1) | instid1(VALU_DEP_2)
	v_dual_add_f32 v43, v47, v43 :: v_dual_fmac_f32 v62, 0xbe750f2a, v61
	v_dual_sub_f32 v47, v106, v107 :: v_dual_add_f32 v2, v3, v2
	v_dual_mul_f32 v3, 0x3f116cb1, v4 :: v_dual_add_f32 v50, v62, v50
	v_fmamk_f32 v62, v61, 0xbf6f5d39, v63
	v_fmac_f32_e32 v63, 0x3f6f5d39, v61
	s_delay_alu instid0(VALU_DEP_2) | instskip(SKIP_4) | instid1(VALU_DEP_4)
	v_dual_add_f32 v51, v62, v51 :: v_dual_fmamk_f32 v62, v61, 0x3f52af12, v65
	v_fmac_f32_e32 v65, 0xbf52af12, v61
	v_mul_f32_e32 v6, 0xbf3f9e67, v6
	v_add_f32_e32 v66, v66, v71
	v_add_f32_e32 v60, v63, v60
	v_dual_add_f32 v8, v62, v48 :: v_dual_add_f32 v49, v65, v49
	s_delay_alu instid0(VALU_DEP_4) | instskip(SKIP_3) | instid1(VALU_DEP_3)
	v_fmamk_f32 v62, v61, 0x3f29c268, v6
	v_fmac_f32_e32 v6, 0xbf29c268, v61
	v_mul_f32_e32 v61, 0xbf3f9e67, v4
	v_add_f32_e32 v63, v67, v64
	v_add_f32_e32 v6, v6, v32
	s_delay_alu instid0(VALU_DEP_3) | instskip(NEXT) | instid1(VALU_DEP_1)
	v_fmamk_f32 v32, v47, 0xbf29c268, v61
	v_dual_fmac_f32 v61, 0x3f29c268, v47 :: v_dual_add_f32 v32, v32, v42
	v_mul_f32_e32 v42, 0x3df6dbef, v4
	s_delay_alu instid0(VALU_DEP_1) | instskip(NEXT) | instid1(VALU_DEP_1)
	v_fmamk_f32 v65, v47, 0x3f7e222b, v42
	v_dual_mul_f32 v48, 0xbeb58ec6, v4 :: v_dual_add_f32 v63, v65, v63
	s_delay_alu instid0(VALU_DEP_1) | instskip(SKIP_1) | instid1(VALU_DEP_1)
	v_fmamk_f32 v64, v47, 0x3f6f5d39, v48
	v_fmac_f32_e32 v48, 0xbf6f5d39, v47
	v_dual_add_f32 v45, v48, v45 :: v_dual_add_f32 v48, v61, v50
	v_mul_f32_e32 v61, 0xbf788fa5, v4
	s_delay_alu instid0(VALU_DEP_4) | instskip(SKIP_1) | instid1(VALU_DEP_1)
	v_add_f32_e32 v44, v64, v44
	v_mul_f32_e32 v64, 0x3f62ad3f, v4
	v_fmamk_f32 v50, v47, 0xbeedf032, v64
	v_fmac_f32_e32 v64, 0x3eedf032, v47
	s_delay_alu instid0(VALU_DEP_1) | instskip(SKIP_1) | instid1(VALU_DEP_1)
	v_dual_add_f32 v50, v50, v51 :: v_dual_add_f32 v51, v64, v60
	v_fmamk_f32 v60, v47, 0xbe750f2a, v61
	v_dual_fmac_f32 v61, 0x3e750f2a, v47 :: v_dual_add_f32 v4, v60, v8
	v_fmac_f32_e32 v42, 0xbf7e222b, v47
	v_dual_sub_f32 v8, v9, v11 :: v_dual_fmamk_f32 v11, v47, 0xbf52af12, v3
	v_fmac_f32_e32 v3, 0x3f52af12, v47
	s_delay_alu instid0(VALU_DEP_3) | instskip(SKIP_2) | instid1(VALU_DEP_3)
	v_dual_mul_f32 v47, 0x3df6dbef, v2 :: v_dual_add_f32 v42, v42, v43
	v_mul_f32_e32 v9, 0xbf3f9e67, v2
	v_add_f32_e32 v43, v61, v49
	v_dual_add_f32 v3, v3, v6 :: v_dual_fmamk_f32 v6, v8, 0xbf7e222b, v47
	v_fmac_f32_e32 v47, 0x3f7e222b, v8
	s_delay_alu instid0(VALU_DEP_4) | instskip(NEXT) | instid1(VALU_DEP_3)
	v_dual_fmamk_f32 v49, v8, 0x3f29c268, v9 :: v_dual_add_f32 v62, v62, v66
	v_add_f32_e32 v6, v6, v32
	s_delay_alu instid0(VALU_DEP_3) | instskip(NEXT) | instid1(VALU_DEP_3)
	v_dual_add_f32 v47, v47, v48 :: v_dual_mul_f32 v32, 0xbf788fa5, v2
	v_dual_add_f32 v44, v49, v44 :: v_dual_mul_f32 v49, 0x3f116cb1, v2
	v_mul_f32_e32 v48, 0x3f62ad3f, v2
	v_mul_f32_e32 v2, 0xbeb58ec6, v2
	s_delay_alu instid0(VALU_DEP_4) | instskip(SKIP_3) | instid1(VALU_DEP_2)
	v_fmamk_f32 v60, v8, 0xbe750f2a, v32
	v_fmac_f32_e32 v32, 0x3e750f2a, v8
	v_fmac_f32_e32 v9, 0xbf29c268, v8
	v_add_f32_e32 v11, v11, v62
	v_dual_add_f32 v32, v32, v42 :: v_dual_add_f32 v9, v9, v45
	v_fmamk_f32 v45, v8, 0x3f52af12, v49
	v_fmamk_f32 v42, v5, 0x3e750f2a, v7
	v_fmac_f32_e32 v7, 0xbe750f2a, v5
	s_delay_alu instid0(VALU_DEP_3) | instskip(NEXT) | instid1(VALU_DEP_2)
	v_dual_add_f32 v45, v45, v50 :: v_dual_fmamk_f32 v50, v8, 0xbeedf032, v48
	v_add_f32_e32 v7, v7, v9
	s_delay_alu instid0(VALU_DEP_2) | instskip(SKIP_2) | instid1(VALU_DEP_3)
	v_dual_add_f32 v1, v50, v4 :: v_dual_fmamk_f32 v4, v8, 0x3f6f5d39, v2
	v_fmac_f32_e32 v49, 0xbf52af12, v8
	v_fmac_f32_e32 v2, 0xbf6f5d39, v8
	v_dual_add_f32 v4, v4, v11 :: v_dual_mul_f32 v11, 0x3f62ad3f, v0
	s_delay_alu instid0(VALU_DEP_3) | instskip(NEXT) | instid1(VALU_DEP_1)
	v_dual_fmac_f32 v48, 0x3eedf032, v8 :: v_dual_add_f32 v49, v49, v51
	v_dual_add_f32 v8, v48, v43 :: v_dual_fmamk_f32 v43, v5, 0xbeedf032, v11
	s_delay_alu instid0(VALU_DEP_4) | instskip(SKIP_2) | instid1(VALU_DEP_4)
	v_dual_fmac_f32 v11, 0x3eedf032, v5 :: v_dual_add_f32 v2, v2, v3
	v_mul_f32_e32 v3, 0xbf3f9e67, v0
	v_add_f32_e32 v42, v42, v44
	v_dual_add_f32 v6, v43, v6 :: v_dual_mul_f32 v43, 0x3f116cb1, v0
	s_delay_alu instid0(VALU_DEP_4) | instskip(NEXT) | instid1(VALU_DEP_4)
	v_add_f32_e32 v11, v11, v47
	v_fmamk_f32 v9, v5, 0x3f29c268, v3
	s_delay_alu instid0(VALU_DEP_3) | instskip(SKIP_1) | instid1(VALU_DEP_3)
	v_fmamk_f32 v44, v5, 0xbf52af12, v43
	v_fmac_f32_e32 v43, 0x3f52af12, v5
	v_add_f32_e32 v9, v9, v45
	v_mul_f32_e32 v45, 0xbeb58ec6, v0
	v_dual_mul_f32 v0, 0x3df6dbef, v0 :: v_dual_add_f32 v51, v60, v63
	s_delay_alu instid0(VALU_DEP_4) | instskip(NEXT) | instid1(VALU_DEP_3)
	v_dual_add_f32 v32, v43, v32 :: v_dual_fmac_f32 v3, 0xbf29c268, v5
	v_fmamk_f32 v34, v5, 0x3f6f5d39, v45
	s_delay_alu instid0(VALU_DEP_3) | instskip(SKIP_3) | instid1(VALU_DEP_4)
	v_dual_fmamk_f32 v43, v5, 0xbf7e222b, v0 :: v_dual_add_f32 v44, v44, v51
	v_fmac_f32_e32 v0, 0x3f7e222b, v5
	v_fmac_f32_e32 v45, 0xbf6f5d39, v5
	v_lshl_add_u32 v5, v30, 2, 0
	v_dual_add_f32 v1, v34, v1 :: v_dual_add_f32 v4, v43, v4
	s_delay_alu instid0(VALU_DEP_4) | instskip(NEXT) | instid1(VALU_DEP_4)
	v_add_f32_e32 v0, v0, v2
	v_dual_add_f32 v2, v45, v8 :: v_dual_add_f32 v3, v3, v49
	ds_store_2addr_b32 v5, v10, v42 offset1:4
	ds_store_2addr_b32 v5, v6, v9 offset0:8 offset1:12
	ds_store_2addr_b32 v5, v44, v1 offset0:16 offset1:20
	;; [unrolled: 1-line block ×5, first 2 shown]
	ds_store_b32 v5, v7 offset:192
.LBB0_35:
	s_wait_alu 0xfffe
	s_or_b32 exec_lo, exec_lo, s1
	v_mul_u32_u24_e32 v0, 6, v92
	global_wb scope:SCOPE_SE
	s_wait_dscnt 0x0
	s_barrier_signal -1
	s_barrier_wait -1
	global_inv scope:SCOPE_SE
	v_lshlrev_b32_e32 v0, 3, v0
	s_clause 0x2
	global_load_b128 v[60:63], v0, s[4:5] offset:400
	global_load_b128 v[64:67], v0, s[4:5] offset:416
	;; [unrolled: 1-line block ×3, first 2 shown]
	v_and_b32_e32 v0, 0xff, v105
	v_add_nc_u32_e32 v80, 0x200, v97
	s_delay_alu instid0(VALU_DEP_2) | instskip(NEXT) | instid1(VALU_DEP_1)
	v_mul_lo_u16 v0, 0x4f, v0
	v_lshrrev_b16 v0, 12, v0
	s_delay_alu instid0(VALU_DEP_1) | instskip(NEXT) | instid1(VALU_DEP_1)
	v_mul_lo_u16 v0, v0, 52
	v_sub_nc_u16 v0, v105, v0
	s_wait_loadcnt 0x2
	s_delay_alu instid0(VALU_DEP_1) | instskip(NEXT) | instid1(VALU_DEP_1)
	v_dual_mul_f32 v105, v57, v63 :: v_dual_and_b32 v30, 0xff, v0
	v_mul_u32_u24_e32 v0, 6, v30
	v_lshl_add_u32 v30, v30, 2, 0
	s_wait_loadcnt 0x1
	v_mul_f32_e32 v109, v13, v67
	v_mul_f32_e32 v107, v56, v65
	;; [unrolled: 1-line block ×3, first 2 shown]
	v_lshlrev_b32_e32 v0, 3, v0
	v_add_nc_u32_e32 v81, 0xa00, v30
	s_wait_loadcnt 0x0
	v_dual_mul_f32 v111, v40, v69 :: v_dual_add_nc_u32 v82, 0xc00, v30
	s_clause 0x2
	global_load_b128 v[8:11], v0, s[4:5] offset:400
	global_load_b128 v[4:7], v0, s[4:5] offset:416
	;; [unrolled: 1-line block ×3, first 2 shown]
	ds_load_2addr_b32 v[72:73], v97 offset1:208
	ds_load_b32 v32, v100
	ds_load_b32 v34, v104
	;; [unrolled: 1-line block ×3, first 2 shown]
	ds_load_2addr_b32 v[44:45], v36 offset0:60 offset1:112
	ds_load_2addr_b32 v[74:75], v53 offset0:12 offset1:64
	ds_load_2addr_b32 v[42:43], v53 offset0:116 offset1:168
	ds_load_b32 v78, v98
	ds_load_2addr_b32 v[50:51], v52 offset0:4 offset1:108
	ds_load_2addr_b32 v[48:49], v46 offset0:32 offset1:136
	;; [unrolled: 1-line block ×4, first 2 shown]
	ds_load_b32 v79, v99
	v_add_nc_u32_e32 v59, 0xa00, v97
	global_wb scope:SCOPE_SE
	s_wait_loadcnt_dscnt 0x0
	s_barrier_signal -1
	s_barrier_wait -1
	global_inv scope:SCOPE_SE
	v_dual_mul_f32 v113, v15, v71 :: v_dual_mul_f32 v114, v73, v61
	v_mul_f32_e32 v83, v32, v61
	v_dual_mul_f32 v85, v34, v63 :: v_dual_mul_f32 v106, v27, v65
	v_mul_f32_e32 v108, v45, v67
	v_mul_f32_e32 v110, v74, v69
	;; [unrolled: 1-line block ×3, first 2 shown]
	v_fma_f32 v32, v32, v60, -v84
	v_mul_f32_e32 v115, v51, v63
	v_dual_mul_f32 v63, v23, v63 :: v_dual_mul_f32 v116, v49, v65
	v_mul_f32_e32 v65, v21, v65
	v_mul_f32_e32 v117, v46, v67
	v_dual_mul_f32 v61, v39, v61 :: v_dual_fmac_f32 v106, v56, v64
	v_dual_mul_f32 v67, v18, v67 :: v_dual_mul_f32 v118, v75, v69
	v_dual_mul_f32 v69, v41, v69 :: v_dual_fmac_f32 v110, v40, v68
	v_dual_mul_f32 v119, v76, v71 :: v_dual_fmac_f32 v108, v13, v66
	;; [unrolled: 1-line block ×3, first 2 shown]
	v_dual_fmac_f32 v85, v57, v62 :: v_dual_fmac_f32 v114, v39, v60
	v_fmac_f32_e32 v83, v58, v60
	v_fma_f32 v34, v34, v62, -v105
	v_fma_f32 v27, v27, v64, -v107
	;; [unrolled: 1-line block ×6, first 2 shown]
	v_dual_fmac_f32 v115, v23, v62 :: v_dual_fmac_f32 v116, v21, v64
	v_fma_f32 v23, v51, v62, -v63
	v_fma_f32 v21, v49, v64, -v65
	v_dual_fmac_f32 v117, v18, v66 :: v_dual_fmac_f32 v118, v41, v68
	v_fma_f32 v18, v46, v66, -v67
	v_fma_f32 v41, v75, v68, -v69
	v_add_f32_e32 v45, v32, v15
	v_dual_sub_f32 v15, v32, v15 :: v_dual_add_f32 v32, v85, v110
	v_dual_fmac_f32 v119, v16, v70 :: v_dual_sub_f32 v46, v83, v112
	v_fma_f32 v16, v76, v70, -v71
	v_add_f32_e32 v43, v83, v112
	v_dual_add_f32 v49, v34, v40 :: v_dual_add_f32 v56, v27, v13
	s_delay_alu instid0(VALU_DEP_3)
	v_dual_sub_f32 v51, v85, v110 :: v_dual_add_f32 v58, v39, v16
	v_sub_f32_e32 v34, v34, v40
	v_dual_add_f32 v40, v106, v108 :: v_dual_sub_f32 v57, v108, v106
	v_dual_sub_f32 v16, v39, v16 :: v_dual_sub_f32 v13, v13, v27
	v_dual_sub_f32 v62, v115, v118 :: v_dual_add_f32 v27, v114, v119
	v_sub_f32_e32 v64, v117, v116
	v_dual_sub_f32 v60, v114, v119 :: v_dual_add_f32 v39, v115, v118
	v_dual_add_f32 v61, v23, v41 :: v_dual_sub_f32 v66, v32, v43
	v_sub_f32_e32 v23, v23, v41
	v_dual_add_f32 v41, v116, v117 :: v_dual_add_f32 v68, v57, v51
	v_dual_add_f32 v63, v21, v18 :: v_dual_sub_f32 v18, v18, v21
	s_delay_alu instid0(VALU_DEP_4)
	v_dual_add_f32 v21, v32, v43 :: v_dual_add_f32 v74, v61, v58
	v_dual_sub_f32 v43, v43, v40 :: v_dual_sub_f32 v70, v57, v51
	v_add_f32_e32 v69, v13, v34
	v_dual_sub_f32 v71, v13, v34 :: v_dual_sub_f32 v34, v34, v15
	v_dual_add_f32 v65, v49, v45 :: v_dual_sub_f32 v32, v40, v32
	v_dual_sub_f32 v67, v49, v45 :: v_dual_add_f32 v84, v18, v23
	v_dual_sub_f32 v49, v56, v49 :: v_dual_sub_f32 v76, v61, v58
	v_sub_f32_e32 v57, v46, v57
	v_add_f32_e32 v73, v39, v27
	v_dual_sub_f32 v58, v58, v63 :: v_dual_sub_f32 v51, v51, v46
	v_dual_sub_f32 v61, v63, v61 :: v_dual_add_f32 v46, v68, v46
	v_mul_f32_e32 v43, 0x3f4a47b2, v43
	v_dual_mul_f32 v68, 0x3f08b237, v70 :: v_dual_add_f32 v21, v40, v21
	v_dual_add_f32 v40, v56, v65 :: v_dual_sub_f32 v45, v45, v56
	v_dual_sub_f32 v13, v15, v13 :: v_dual_mul_f32 v56, 0x3d64c772, v32
	v_sub_f32_e32 v75, v39, v27
	v_dual_sub_f32 v27, v27, v41 :: v_dual_mul_f32 v70, 0xbf5ff5aa, v51
	s_delay_alu instid0(VALU_DEP_4)
	v_dual_sub_f32 v105, v18, v23 :: v_dual_add_f32 v72, v72, v40
	v_sub_f32_e32 v85, v64, v62
	v_mul_f32_e32 v58, 0x3f4a47b2, v58
	v_add_f32_e32 v83, v64, v62
	v_sub_f32_e32 v64, v60, v64
	v_dual_sub_f32 v62, v62, v60 :: v_dual_add_f32 v15, v69, v15
	v_fmamk_f32 v32, v32, 0x3d64c772, v43
	v_mul_f32_e32 v69, 0x3f08b237, v71
	v_dual_add_f32 v63, v63, v74 :: v_dual_mul_f32 v74, 0x3d64c772, v61
	v_dual_sub_f32 v39, v41, v39 :: v_dual_add_f32 v60, v83, v60
	v_mul_f32_e32 v71, 0xbf5ff5aa, v34
	v_fma_f32 v56, 0x3f3bfb3b, v66, -v56
	v_fma_f32 v43, 0xbf3bfb3b, v66, -v43
	v_fmamk_f32 v66, v57, 0xbeae86e6, v68
	v_fma_f32 v57, 0x3eae86e6, v57, -v70
	v_fmamk_f32 v61, v61, 0x3d64c772, v58
	v_fma_f32 v70, 0x3f3bfb3b, v76, -v74
	v_fma_f32 v58, 0xbf3bfb3b, v76, -v58
	v_dual_sub_f32 v18, v16, v18 :: v_dual_sub_f32 v23, v23, v16
	v_add_f32_e32 v38, v38, v21
	v_mul_f32_e32 v65, 0x3d64c772, v49
	v_dual_add_f32 v41, v41, v73 :: v_dual_fmamk_f32 v40, v40, 0xbf955555, v72
	v_add_f32_e32 v16, v84, v16
	v_mul_f32_e32 v84, 0x3f08b237, v105
	v_fma_f32 v51, 0xbf5ff5aa, v51, -v68
	v_fmamk_f32 v21, v21, 0xbf955555, v38
	v_mul_f32_e32 v105, 0xbf5ff5aa, v23
	v_dual_add_f32 v55, v55, v41 :: v_dual_fmac_f32 v66, 0xbee1c552, v46
	v_fma_f32 v23, 0xbf5ff5aa, v23, -v84
	v_fmac_f32_e32 v51, 0xbee1c552, v46
	s_delay_alu instid0(VALU_DEP_2) | instskip(SKIP_3) | instid1(VALU_DEP_4)
	v_dual_fmac_f32 v23, 0xbee1c552, v16 :: v_dual_mul_f32 v74, v50, v9
	v_mul_f32_e32 v76, v44, v5
	v_fma_f32 v34, 0xbf5ff5aa, v34, -v69
	v_mul_f32_e32 v27, 0x3f4a47b2, v27
	v_dual_mul_f32 v73, 0x3d64c772, v39 :: v_dual_fmac_f32 v74, v22, v8
	s_delay_alu instid0(VALU_DEP_4) | instskip(NEXT) | instid1(VALU_DEP_4)
	v_fmac_f32_e32 v76, v12, v4
	v_fmac_f32_e32 v34, 0xbee1c552, v15
	v_dual_mul_f32 v45, 0x3f4a47b2, v45 :: v_dual_add_f32 v68, v78, v63
	v_dual_mul_f32 v78, v47, v7 :: v_dual_mul_f32 v83, 0x3f08b237, v85
	v_mul_f32_e32 v85, 0xbf5ff5aa, v62
	s_delay_alu instid0(VALU_DEP_3)
	v_fmamk_f32 v49, v49, 0x3d64c772, v45
	v_fma_f32 v65, 0x3f3bfb3b, v67, -v65
	v_fma_f32 v45, 0xbf3bfb3b, v67, -v45
	v_fmamk_f32 v67, v13, 0xbeae86e6, v69
	v_fmamk_f32 v39, v39, 0x3d64c772, v27
	v_fma_f32 v69, 0x3f3bfb3b, v75, -v73
	v_fma_f32 v27, 0xbf3bfb3b, v75, -v27
	v_mul_f32_e32 v75, v48, v11
	v_dual_mul_f32 v11, v20, v11 :: v_dual_fmac_f32 v78, v19, v6
	v_fma_f32 v62, 0xbf5ff5aa, v62, -v83
	v_mul_f32_e32 v9, v22, v9
	s_delay_alu instid0(VALU_DEP_2) | instskip(NEXT) | instid1(VALU_DEP_2)
	v_dual_mul_f32 v7, v19, v7 :: v_dual_fmac_f32 v62, 0xbee1c552, v60
	v_fma_f32 v8, v50, v8, -v9
	v_fma_f32 v9, v48, v10, -v11
	v_dual_fmac_f32 v75, v20, v10 :: v_dual_add_f32 v10, v43, v21
	v_fmac_f32_e32 v67, 0xbee1c552, v15
	v_dual_fmamk_f32 v73, v18, 0xbeae86e6, v84 :: v_dual_mul_f32 v84, v77, v3
	v_fma_f32 v13, 0x3eae86e6, v13, -v71
	v_sub_f32_e32 v48, v78, v76
	v_add_f32_e32 v11, v45, v40
	s_delay_alu instid0(VALU_DEP_3) | instskip(SKIP_3) | instid1(VALU_DEP_4)
	v_dual_fmac_f32 v84, v17, v2 :: v_dual_fmac_f32 v13, 0xbee1c552, v15
	v_mul_f32_e32 v5, v12, v5
	v_fma_f32 v18, 0x3eae86e6, v18, -v105
	v_fmamk_f32 v15, v41, 0xbf955555, v55
	v_dual_fmamk_f32 v71, v64, 0xbeae86e6, v83 :: v_dual_add_f32 v22, v13, v10
	s_delay_alu instid0(VALU_DEP_4) | instskip(SKIP_4) | instid1(VALU_DEP_4)
	v_fma_f32 v4, v44, v4, -v5
	v_fma_f32 v5, v47, v6, -v7
	v_fmamk_f32 v41, v63, 0xbf955555, v68
	v_dual_fmac_f32 v18, 0xbee1c552, v16 :: v_dual_fmac_f32 v57, 0xbee1c552, v46
	v_dual_add_f32 v6, v56, v21 :: v_dual_mul_f32 v3, v17, v3
	v_add_f32_e32 v47, v4, v5
	v_add_f32_e32 v7, v65, v40
	v_mul_f32_e32 v83, v42, v1
	v_dual_mul_f32 v1, v14, v1 :: v_dual_sub_f32 v4, v5, v4
	s_delay_alu instid0(VALU_DEP_2) | instskip(NEXT) | instid1(VALU_DEP_2)
	v_fmac_f32_e32 v83, v14, v0
	v_fma_f32 v0, v42, v0, -v1
	v_fma_f32 v1, v77, v2, -v3
	v_add_f32_e32 v2, v32, v21
	v_add_f32_e32 v17, v70, v41
	;; [unrolled: 1-line block ×3, first 2 shown]
	v_sub_f32_e32 v32, v6, v34
	v_add_f32_e32 v6, v34, v6
	v_fma_f32 v64, 0x3eae86e6, v64, -v85
	v_add_f32_e32 v44, v62, v17
	v_dual_add_f32 v20, v67, v2 :: v_dual_fmac_f32 v73, 0xbee1c552, v16
	v_dual_add_f32 v16, v69, v15 :: v_dual_fmac_f32 v71, 0xbee1c552, v60
	s_delay_alu instid0(VALU_DEP_4) | instskip(SKIP_1) | instid1(VALU_DEP_3)
	v_fmac_f32_e32 v64, 0xbee1c552, v60
	v_sub_f32_e32 v2, v2, v67
	v_sub_f32_e32 v42, v14, v71
	v_add_f32_e32 v46, v71, v14
	v_add_f32_e32 v12, v39, v15
	v_dual_add_f32 v15, v27, v15 :: v_dual_add_f32 v14, v74, v84
	v_add_f32_e32 v3, v49, v40
	v_add_f32_e32 v19, v58, v41
	;; [unrolled: 1-line block ×3, first 2 shown]
	v_sub_f32_e32 v34, v7, v51
	s_delay_alu instid0(VALU_DEP_4)
	v_sub_f32_e32 v21, v3, v66
	v_add_f32_e32 v41, v66, v3
	v_dual_add_f32 v3, v73, v12 :: v_dual_sub_f32 v12, v12, v73
	v_sub_f32_e32 v7, v10, v13
	v_add_f32_e32 v10, v18, v15
	v_dual_add_f32 v40, v57, v11 :: v_dual_add_f32 v13, v23, v16
	v_dual_sub_f32 v15, v15, v18 :: v_dual_add_f32 v18, v9, v0
	v_dual_sub_f32 v0, v9, v0 :: v_dual_sub_f32 v27, v11, v57
	v_sub_f32_e32 v11, v16, v23
	v_add_f32_e32 v16, v8, v1
	v_sub_f32_e32 v1, v8, v1
	v_add_f32_e32 v9, v76, v78
	v_add_f32_e32 v57, v4, v0
	v_sub_f32_e32 v60, v4, v0
	v_add_f32_e32 v49, v18, v16
	v_dual_sub_f32 v51, v18, v16 :: v_dual_sub_f32 v16, v16, v47
	v_add_f32_e32 v8, v75, v83
	v_sub_f32_e32 v4, v1, v4
	ds_store_2addr_b32 v97, v38, v20 offset1:52
	ds_store_2addr_b32 v97, v22, v32 offset0:104 offset1:156
	ds_store_2addr_b32 v80, v6, v7 offset0:80 offset1:132
	;; [unrolled: 1-line block ×6, first 2 shown]
	v_dual_sub_f32 v23, v17, v62 :: v_dual_mul_f32 v12, 0x3f08b237, v60
	v_add_f32_e32 v5, v8, v14
	v_sub_f32_e32 v50, v8, v14
	v_sub_f32_e32 v8, v9, v8
	;; [unrolled: 1-line block ×4, first 2 shown]
	v_dual_add_f32 v2, v9, v5 :: v_dual_mul_f32 v7, 0x3f4a47b2, v16
	v_add_f32_e32 v45, v64, v19
	s_delay_alu instid0(VALU_DEP_3) | instskip(NEXT) | instid1(VALU_DEP_3)
	v_dual_sub_f32 v19, v75, v83 :: v_dual_mul_f32 v10, 0x3d64c772, v18
	v_add_f32_e32 v15, v54, v2
	s_delay_alu instid0(VALU_DEP_4) | instskip(SKIP_2) | instid1(VALU_DEP_4)
	v_fmamk_f32 v16, v18, 0x3d64c772, v7
	v_dual_fmamk_f32 v18, v4, 0xbeae86e6, v12 :: v_dual_add_f32 v3, v47, v49
	v_sub_f32_e32 v17, v74, v84
	v_fmamk_f32 v2, v2, 0xbf955555, v15
	v_sub_f32_e32 v0, v0, v1
	v_dual_add_f32 v1, v57, v1 :: v_dual_add_f32 v56, v48, v19
	v_sub_f32_e32 v58, v48, v19
	v_add_f32_e32 v20, v79, v3
	v_sub_f32_e32 v48, v17, v48
	s_delay_alu instid0(VALU_DEP_4) | instskip(SKIP_1) | instid1(VALU_DEP_4)
	v_fmac_f32_e32 v18, 0xbee1c552, v1
	v_dual_sub_f32 v14, v14, v9 :: v_dual_mul_f32 v9, 0x3d64c772, v8
	v_fmamk_f32 v3, v3, 0xbf955555, v20
	s_delay_alu instid0(VALU_DEP_2) | instskip(SKIP_1) | instid1(VALU_DEP_4)
	v_mul_f32_e32 v6, 0x3f4a47b2, v14
	v_mul_f32_e32 v14, 0xbf5ff5aa, v0
	v_fma_f32 v9, 0x3f3bfb3b, v50, -v9
	v_fma_f32 v0, 0xbf5ff5aa, v0, -v12
	s_delay_alu instid0(VALU_DEP_4) | instskip(SKIP_4) | instid1(VALU_DEP_2)
	v_fmamk_f32 v8, v8, 0x3d64c772, v6
	v_fma_f32 v6, 0xbf3bfb3b, v50, -v6
	v_sub_f32_e32 v19, v19, v17
	v_fma_f32 v4, 0x3eae86e6, v4, -v14
	v_fmac_f32_e32 v0, 0xbee1c552, v1
	v_dual_fmac_f32 v4, 0xbee1c552, v1 :: v_dual_add_f32 v1, v8, v2
	v_add_f32_e32 v8, v9, v2
	v_add_f32_e32 v2, v6, v2
	v_mul_f32_e32 v11, 0x3f08b237, v58
	v_mul_f32_e32 v13, 0xbf5ff5aa, v19
	v_fma_f32 v10, 0x3f3bfb3b, v51, -v10
	v_fma_f32 v7, 0xbf3bfb3b, v51, -v7
	v_add_f32_e32 v5, v56, v17
	v_fmamk_f32 v17, v48, 0xbeae86e6, v11
	v_fma_f32 v11, 0xbf5ff5aa, v19, -v11
	s_delay_alu instid0(VALU_DEP_4)
	v_dual_add_f32 v9, v4, v2 :: v_dual_add_f32 v6, v7, v3
	v_sub_f32_e32 v2, v2, v4
	v_fma_f32 v12, 0x3eae86e6, v48, -v13
	v_fmac_f32_e32 v17, 0xbee1c552, v5
	v_fmac_f32_e32 v11, 0xbee1c552, v5
	v_add_f32_e32 v7, v18, v1
	s_delay_alu instid0(VALU_DEP_4) | instskip(SKIP_3) | instid1(VALU_DEP_4)
	v_dual_sub_f32 v1, v1, v18 :: v_dual_fmac_f32 v12, 0xbee1c552, v5
	v_add_f32_e32 v5, v16, v3
	v_dual_add_f32 v3, v10, v3 :: v_dual_sub_f32 v10, v8, v0
	v_add_f32_e32 v0, v0, v8
	v_sub_f32_e32 v38, v6, v12
	s_delay_alu instid0(VALU_DEP_3)
	v_dual_sub_f32 v32, v5, v17 :: v_dual_add_f32 v47, v11, v3
	v_dual_sub_f32 v48, v3, v11 :: v_dual_add_f32 v49, v12, v6
	v_add_f32_e32 v50, v17, v5
	ds_store_2addr_b32 v81, v15, v7 offset0:88 offset1:140
	ds_store_2addr_b32 v82, v9, v10 offset0:64 offset1:116
	;; [unrolled: 1-line block ×3, first 2 shown]
	ds_store_b32 v30, v1 offset:4160
	global_wb scope:SCOPE_SE
	s_wait_dscnt 0x0
	s_barrier_signal -1
	s_barrier_wait -1
	global_inv scope:SCOPE_SE
	ds_load_b32 v12, v97
	ds_load_b32 v18, v101
	ds_load_2addr_b32 v[0:1], v59 offset0:88 offset1:140
	ds_load_2addr_b32 v[2:3], v52 offset0:160 offset1:212
	ds_load_2addr_b32 v[4:5], v53 offset0:64 offset1:116
	ds_load_2addr_b32 v[6:7], v36 offset0:8 offset1:60
	ds_load_2addr_b32 v[8:9], v53 offset0:168 offset1:220
	ds_load_2addr_b32 v[10:11], v36 offset0:112 offset1:164
	ds_load_b32 v13, v99
	ds_load_b32 v15, v100
	;; [unrolled: 1-line block ×6, first 2 shown]
	ds_load_b32 v22, v97 offset:4160
	global_wb scope:SCOPE_SE
	s_wait_dscnt 0x0
	s_barrier_signal -1
	s_barrier_wait -1
	global_inv scope:SCOPE_SE
	ds_store_2addr_b32 v97, v72, v21 offset1:52
	ds_store_2addr_b32 v97, v27, v39 offset0:104 offset1:156
	ds_store_2addr_b32 v80, v34, v40 offset0:80 offset1:132
	;; [unrolled: 1-line block ×9, first 2 shown]
	ds_store_b32 v30, v50 offset:4160
	global_wb scope:SCOPE_SE
	s_wait_dscnt 0x0
	s_barrier_signal -1
	s_barrier_wait -1
	global_inv scope:SCOPE_SE
	s_and_saveexec_b32 s0, vcc_lo
	s_cbranch_execz .LBB0_37
; %bb.36:
	v_dual_mov_b32 v30, 0 :: v_dual_add_nc_u32 v77, 0xc00, v97
	v_mad_co_u64_u32 v[57:58], null, s8, v92, 0
	v_mad_co_u64_u32 v[61:62], null, s8, v93, 0
	s_delay_alu instid0(VALU_DEP_3) | instskip(SKIP_3) | instid1(VALU_DEP_4)
	v_mov_b32_e32 v38, v30
	v_lshlrev_b64_e32 v[20:21], 3, v[29:30]
	v_dual_mov_b32 v29, v30 :: v_dual_mov_b32 v36, v30
	v_mov_b32_e32 v27, v30
	v_lshlrev_b64_e32 v[37:38], 3, v[37:38]
	v_dual_mov_b32 v34, v30 :: v_dual_add_nc_u32 v79, 0x400, v97
	v_add_co_u32 v20, vcc_lo, s4, v20
	s_wait_alu 0xfffd
	v_add_co_ci_u32_e32 v21, vcc_lo, s5, v21, vcc_lo
	s_delay_alu instid0(VALU_DEP_4)
	v_add_co_u32 v37, vcc_lo, s4, v37
	s_wait_alu 0xfffd
	v_add_co_ci_u32_e32 v38, vcc_lo, s5, v38, vcc_lo
	v_lshlrev_b64_e32 v[41:42], 3, v[35:36]
	v_lshlrev_b64_e32 v[43:44], 3, v[33:34]
	s_clause 0x1
	global_load_b128 v[33:36], v[20:21], off offset:2896
	global_load_b128 v[37:40], v[37:38], off offset:2896
	v_mov_b32_e32 v32, v30
	v_lshlrev_b64_e32 v[49:50], 3, v[28:29]
	v_mad_co_u64_u32 v[65:66], null, s8, v94, 0
	v_add_co_u32 v20, vcc_lo, s4, v41
	s_delay_alu instid0(VALU_DEP_4)
	v_lshlrev_b64_e32 v[31:32], 3, v[31:32]
	s_wait_alu 0xfffd
	v_add_co_ci_u32_e32 v21, vcc_lo, s5, v42, vcc_lo
	v_add_co_u32 v41, vcc_lo, s4, v43
	s_wait_alu 0xfffd
	v_add_co_ci_u32_e32 v42, vcc_lo, s5, v44, vcc_lo
	v_add_co_u32 v45, vcc_lo, s4, v31
	s_wait_alu 0xfffd
	v_add_co_ci_u32_e32 v46, vcc_lo, s5, v32, vcc_lo
	s_clause 0x2
	global_load_b128 v[28:31], v[20:21], off offset:2896
	global_load_b128 v[41:44], v[41:42], off offset:2896
	;; [unrolled: 1-line block ×3, first 2 shown]
	v_lshlrev_b64_e32 v[20:21], 3, v[26:27]
	v_add_co_u32 v26, vcc_lo, s4, v49
	s_wait_alu 0xfffd
	v_add_co_ci_u32_e32 v27, vcc_lo, s5, v50, vcc_lo
	v_add_nc_u32_e32 v32, 0x800, v97
	s_delay_alu instid0(VALU_DEP_4)
	v_add_co_u32 v20, vcc_lo, s4, v20
	s_wait_alu 0xfffd
	v_add_co_ci_u32_e32 v21, vcc_lo, s5, v21, vcc_lo
	s_clause 0x1
	global_load_b128 v[49:52], v[26:27], off offset:2896
	global_load_b128 v[53:56], v[20:21], off offset:2896
	ds_load_b32 v106, v104
	ds_load_b32 v107, v103
	;; [unrolled: 1-line block ×6, first 2 shown]
	ds_load_2addr_b32 v[26:27], v59 offset0:88 offset1:140
	ds_load_b32 v112, v97 offset:4160
	ds_load_b32 v113, v97
	ds_load_b32 v114, v101
	v_add_co_u32 v20, vcc_lo, s10, v24
	v_add_nc_u32_e32 v103, 0x2d8, v92
	s_wait_alu 0xfffd
	v_add_co_ci_u32_e32 v21, vcc_lo, s11, v25, vcc_lo
	v_lshrrev_b32_e32 v25, 2, v88
	v_mad_co_u64_u32 v[23:24], null, s8, v95, 0
	v_mad_co_u64_u32 v[81:82], null, s8, v103, 0
	s_delay_alu instid0(VALU_DEP_3)
	v_mul_hi_u32 v116, 0x5a05a05b, v25
	v_mov_b32_e32 v25, v58
	v_mad_co_u64_u32 v[59:60], null, s8, v91, 0
	v_add_nc_u32_e32 v104, 0x30c, v92
	ds_load_2addr_b32 v[71:72], v32 offset0:112 offset1:164
	ds_load_2addr_b32 v[73:74], v77 offset0:168 offset1:220
	;; [unrolled: 1-line block ×5, first 2 shown]
	v_mad_co_u64_u32 v[69:70], null, s8, v96, 0
	s_wait_dscnt 0x8
	v_mad_co_u64_u32 v[101:102], null, s9, v92, v[25:26]
	v_mad_co_u64_u32 v[24:25], null, s9, v95, v[24:25]
	v_mov_b32_e32 v25, v82
	v_mad_co_u64_u32 v[83:84], null, s8, v104, 0
	v_mad_co_u64_u32 v[63:64], null, s8, v90, 0
	v_dual_mov_b32 v32, v60 :: v_dual_add_nc_u32 v115, 0x374, v92
	v_mad_co_u64_u32 v[67:68], null, s8, v89, 0
	v_mov_b32_e32 v58, v62
	v_mov_b32_e32 v62, v66
	;; [unrolled: 1-line block ×3, first 2 shown]
	v_or_b32_e32 v105, 0x340, v92
	v_mov_b32_e32 v60, v64
	v_mad_co_u64_u32 v[99:100], null, s8, v115, 0
	v_mov_b32_e32 v64, v68
	s_delay_alu instid0(VALU_DEP_4)
	v_mad_co_u64_u32 v[97:98], null, s8, v105, 0
	v_lshlrev_b64_e32 v[23:24], 3, v[23:24]
	s_wait_loadcnt 0x6
	v_mad_co_u64_u32 v[91:92], null, s9, v91, v[32:33]
	v_mov_b32_e32 v32, v84
	v_mad_co_u64_u32 v[92:93], null, s9, v93, v[58:59]
	v_mad_co_u64_u32 v[93:94], null, s9, v94, v[62:63]
	;; [unrolled: 1-line block ×5, first 2 shown]
	v_mul_f32_e32 v32, v11, v34
	s_wait_dscnt 0x4
	v_mul_f32_e32 v34, v72, v34
	v_lshrrev_b32_e32 v62, 5, v116
	v_mov_b32_e32 v58, v98
	v_fma_f32 v32, v33, v72, -v32
	s_wait_loadcnt 0x5
	v_dual_fmac_f32 v34, v11, v33 :: v_dual_mul_f32 v11, v10, v38
	v_mad_co_u64_u32 v[84:85], null, s9, v90, v[60:61]
	v_mad_u32_u24 v85, 0x2d8, v62, v88
	v_mov_b32_e32 v62, v92
	s_delay_alu instid0(VALU_DEP_4) | instskip(SKIP_3) | instid1(VALU_DEP_3)
	v_fma_f32 v11, v37, v71, -v11
	v_mul_f32_e32 v92, v22, v36
	v_dual_mul_f32 v36, v112, v36 :: v_dual_mul_f32 v33, v71, v38
	v_mov_b32_e32 v60, v100
	v_fma_f32 v72, v35, v112, -v92
	v_mov_b32_e32 v66, v93
	s_wait_loadcnt 0x3
	v_mul_f32_e32 v92, v5, v44
	s_wait_loadcnt_dscnt 0x201
	v_dual_mul_f32 v44, v78, v44 :: v_dual_mul_f32 v93, v3, v46
	v_fmac_f32_e32 v36, v22, v35
	v_mul_f32_e32 v35, v74, v40
	v_mad_co_u64_u32 v[89:90], null, s9, v89, v[64:65]
	s_delay_alu instid0(VALU_DEP_4)
	v_fmac_f32_e32 v44, v5, v43
	v_mul_f32_e32 v38, v7, v29
	v_mul_f32_e32 v29, v76, v29
	s_wait_dscnt 0x0
	v_fma_f32 v5, v45, v80, -v93
	v_mad_co_u64_u32 v[103:104], null, s9, v105, v[58:59]
	s_delay_alu instid0(VALU_DEP_3)
	v_dual_mov_b32 v68, v89 :: v_dual_fmac_f32 v29, v7, v28
	v_dual_mov_b32 v70, v94 :: v_dual_fmac_f32 v35, v9, v39
	v_mul_f32_e32 v22, v9, v40
	v_fma_f32 v9, v28, v76, -v38
	v_add_f32_e32 v71, v110, v5
	v_fma_f32 v28, v43, v78, -v92
	v_mul_f32_e32 v40, v8, v31
	v_mov_b32_e32 v58, v101
	v_dual_mov_b32 v64, v84 :: v_dual_fmac_f32 v33, v10, v37
	s_wait_loadcnt 0x1
	v_mul_f32_e32 v96, v1, v52
	v_mul_f32_e32 v52, v27, v52
	v_add_f32_e32 v100, v32, v72
	v_fma_f32 v37, v30, v73, -v40
	v_dual_mov_b32 v98, v103 :: v_dual_mul_f32 v31, v73, v31
	v_dual_mov_b32 v82, v95 :: v_dual_mul_f32 v95, v2, v50
	v_lshlrev_b64_e32 v[57:58], 3, v[57:58]
	v_mad_co_u64_u32 v[104:105], null, s9, v115, v[60:61]
	s_delay_alu instid0(VALU_DEP_4)
	v_dual_fmac_f32 v31, v8, v30 :: v_dual_mov_b32 v60, v91
	v_lshlrev_b64_e32 v[90:91], 3, v[97:98]
	s_wait_loadcnt 0x0
	v_mul_f32_e32 v97, v18, v54
	v_fma_f32 v38, v51, v27, -v96
	v_fmac_f32_e32 v52, v1, v51
	v_fma_f32 v1, -0.5, v100, v106
	v_add_f32_e32 v27, v108, v9
	v_sub_f32_e32 v101, v34, v36
	v_mul_f32_e32 v98, v0, v56
	v_lshlrev_b64_e32 v[59:60], 3, v[59:60]
	v_add_co_u32 v57, vcc_lo, v20, v57
	s_wait_alu 0xfffd
	v_add_co_ci_u32_e32 v58, vcc_lo, v21, v58, vcc_lo
	v_lshlrev_b64_e32 v[61:62], 3, v[61:62]
	v_add_co_u32 v23, vcc_lo, v20, v23
	v_fma_f32 v22, v39, v74, -v22
	v_fma_f32 v39, v55, v26, -v98
	v_mul_f32_e32 v94, v4, v48
	v_mul_f32_e32 v48, v77, v48
	s_wait_alu 0xfffd
	v_add_co_ci_u32_e32 v24, vcc_lo, v21, v24, vcc_lo
	v_lshlrev_b64_e32 v[63:64], 3, v[63:64]
	v_add_co_u32 v59, vcc_lo, v20, v59
	s_wait_alu 0xfffd
	v_add_co_ci_u32_e32 v60, vcc_lo, v21, v60, vcc_lo
	v_sub_f32_e32 v43, v29, v31
	v_fmac_f32_e32 v48, v4, v47
	v_mul_f32_e32 v50, v79, v50
	v_add_co_u32 v61, vcc_lo, v20, v61
	v_sub_f32_e32 v103, v32, v72
	v_lshlrev_b64_e32 v[65:66], 3, v[65:66]
	s_wait_alu 0xfffd
	v_add_co_ci_u32_e32 v62, vcc_lo, v21, v62, vcc_lo
	v_lshlrev_b64_e32 v[67:68], 3, v[67:68]
	v_add_co_u32 v63, vcc_lo, v20, v63
	v_add_f32_e32 v32, v106, v32
	v_mov_b32_e32 v84, v102
	v_fmac_f32_e32 v50, v2, v49
	v_mul_f32_e32 v46, v80, v46
	s_wait_alu 0xfffd
	v_add_co_ci_u32_e32 v64, vcc_lo, v21, v64, vcc_lo
	v_lshlrev_b64_e32 v[81:82], 3, v[81:82]
	v_sub_f32_e32 v73, v50, v52
	v_add_co_u32 v65, vcc_lo, v20, v65
	s_wait_alu 0xfffd
	v_add_co_ci_u32_e32 v66, vcc_lo, v21, v66, vcc_lo
	v_add_co_u32 v67, vcc_lo, v20, v67
	v_sub_f32_e32 v40, v33, v35
	v_dual_fmac_f32 v46, v3, v45 :: v_dual_add_f32 v3, v32, v72
	v_lshlrev_b64_e32 v[83:84], 3, v[83:84]
	v_mad_co_u64_u32 v[88:89], null, s8, v85, 0
	s_wait_alu 0xfffd
	v_add_co_ci_u32_e32 v68, vcc_lo, v21, v68, vcc_lo
	v_add_co_u32 v81, vcc_lo, v20, v81
	s_wait_alu 0xfffd
	v_add_co_ci_u32_e32 v82, vcc_lo, v21, v82, vcc_lo
	v_add_co_u32 v83, vcc_lo, v20, v83
	s_wait_alu 0xfffd
	v_add_co_ci_u32_e32 v84, vcc_lo, v21, v84, vcc_lo
	v_mov_b32_e32 v25, v89
	v_add_co_u32 v89, vcc_lo, v20, v90
	s_wait_alu 0xfffd
	v_add_co_ci_u32_e32 v90, vcc_lo, v21, v91, vcc_lo
	v_mul_f32_e32 v91, v6, v42
	v_dual_mul_f32 v42, v75, v42 :: v_dual_sub_f32 v51, v46, v48
	v_mul_f32_e32 v54, v114, v54
	v_fma_f32 v4, v49, v79, -v95
	s_delay_alu instid0(VALU_DEP_4) | instskip(NEXT) | instid1(VALU_DEP_4)
	v_fma_f32 v7, v41, v75, -v91
	v_fmac_f32_e32 v42, v6, v41
	v_add_f32_e32 v8, v11, v22
	v_sub_f32_e32 v41, v11, v22
	v_dual_add_f32 v11, v107, v11 :: v_dual_mul_f32 v56, v26, v56
	v_fma_f32 v30, v47, v77, -v94
	v_sub_f32_e32 v47, v42, v44
	v_fmac_f32_e32 v54, v18, v53
	v_add_f32_e32 v76, v111, v4
	v_add_f32_e32 v102, v34, v36
	v_fmac_f32_e32 v56, v0, v55
	v_add_f32_e32 v34, v19, v34
	v_fma_f32 v6, v53, v114, -v97
	v_add_f32_e32 v10, v33, v35
	s_delay_alu instid0(VALU_DEP_4) | instskip(NEXT) | instid1(VALU_DEP_4)
	v_dual_add_f32 v18, v17, v33 :: v_dual_add_f32 v79, v54, v56
	v_add_f32_e32 v2, v34, v36
	v_add_f32_e32 v34, v109, v7
	;; [unrolled: 1-line block ×3, first 2 shown]
	v_dual_sub_f32 v80, v6, v39 :: v_dual_add_f32 v91, v113, v6
	v_fma_f32 v6, -0.5, v10, v17
	v_add_f32_e32 v17, v27, v37
	v_add_f32_e32 v27, v34, v28
	;; [unrolled: 1-line block ×4, first 2 shown]
	v_dual_sub_f32 v49, v7, v28 :: v_dual_add_f32 v72, v4, v38
	v_fma_f32 v7, -0.5, v8, v107
	v_add_f32_e32 v8, v18, v35
	v_fma_f32 v18, -0.5, v33, v15
	v_add_f32_e32 v33, v76, v38
	;; [unrolled: 2-line block ×3, first 2 shown]
	v_sub_f32_e32 v45, v9, v37
	v_dual_fmamk_f32 v37, v40, 0xbf5db3d7, v7 :: v_dual_add_f32 v36, v15, v42
	v_add_f32_e32 v42, v5, v30
	v_fma_f32 v15, -0.5, v72, v111
	v_dual_add_f32 v26, v29, v31 :: v_dual_add_f32 v29, v16, v29
	v_add_f32_e32 v9, v11, v22
	v_fma_f32 v11, -0.5, v19, v108
	v_fma_f32 v19, -0.5, v32, v109
	s_delay_alu instid0(VALU_DEP_4)
	v_fma_f32 v10, -0.5, v26, v16
	v_add_f32_e32 v16, v29, v31
	v_fma_f32 v29, -0.5, v42, v110
	v_add_f32_e32 v35, v91, v39
	v_fmac_f32_e32 v7, 0x3f5db3d7, v40
	v_fmamk_f32 v39, v43, 0xbf5db3d7, v11
	v_add_f32_e32 v53, v46, v48
	v_add_f32_e32 v26, v36, v44
	v_fmamk_f32 v36, v41, 0x3f5db3d7, v6
	v_fmac_f32_e32 v6, 0xbf5db3d7, v41
	v_fmac_f32_e32 v11, 0x3f5db3d7, v43
	v_dual_fmamk_f32 v41, v47, 0xbf5db3d7, v19 :: v_dual_add_f32 v74, v50, v52
	v_fmac_f32_e32 v19, 0x3f5db3d7, v47
	v_dual_fmamk_f32 v43, v51, 0xbf5db3d7, v29 :: v_dual_sub_f32 v78, v54, v56
	v_add_f32_e32 v54, v12, v54
	v_add_f32_e32 v46, v13, v46
	v_fma_f32 v28, -0.5, v53, v13
	v_fma_f32 v13, -0.5, v77, v113
	;; [unrolled: 1-line block ×3, first 2 shown]
	v_add_f32_e32 v50, v14, v50
	v_sub_f32_e32 v75, v4, v38
	v_fma_f32 v14, -0.5, v74, v14
	v_dual_sub_f32 v55, v5, v30 :: v_dual_add_f32 v34, v54, v56
	v_dual_add_f32 v31, v71, v30 :: v_dual_add_f32 v30, v46, v48
	v_fmamk_f32 v47, v78, 0xbf5db3d7, v13
	v_dual_fmamk_f32 v46, v80, 0x3f5db3d7, v12 :: v_dual_fmac_f32 v13, 0x3f5db3d7, v78
	v_fmac_f32_e32 v12, 0xbf5db3d7, v80
	v_add_f32_e32 v32, v50, v52
	v_lshlrev_b64_e32 v[69:70], 3, v[69:70]
	v_fmamk_f32 v38, v45, 0x3f5db3d7, v10
	v_dual_fmac_f32 v10, 0xbf5db3d7, v45 :: v_dual_fmamk_f32 v45, v73, 0xbf5db3d7, v15
	v_dual_fmamk_f32 v44, v75, 0x3f5db3d7, v14 :: v_dual_fmac_f32 v15, 0x3f5db3d7, v73
	v_fmac_f32_e32 v14, 0xbf5db3d7, v75
	v_dual_fmamk_f32 v42, v55, 0x3f5db3d7, v28 :: v_dual_fmac_f32 v29, 0x3f5db3d7, v51
	v_fmac_f32_e32 v28, 0xbf5db3d7, v55
	s_clause 0x8
	global_store_b64 v[57:58], v[34:35], off
	global_store_b64 v[23:24], v[12:13], off
	;; [unrolled: 1-line block ×9, first 2 shown]
	v_mad_co_u64_u32 v[14:15], null, s9, v85, v[25:26]
	v_lshrrev_b32_e32 v15, 2, v87
	v_add_co_u32 v12, vcc_lo, v20, v69
	v_add_nc_u32_e32 v24, 0x16c, v85
	v_fmamk_f32 v40, v49, 0x3f5db3d7, v18
	s_delay_alu instid0(VALU_DEP_4)
	v_mul_hi_u32 v22, 0x5a05a05b, v15
	v_fmac_f32_e32 v18, 0xbf5db3d7, v49
	s_wait_alu 0xfffd
	v_add_co_ci_u32_e32 v13, vcc_lo, v21, v70, vcc_lo
	s_clause 0x1
	global_store_b64 v[67:68], v[26:27], off
	global_store_b64 v[12:13], v[18:19], off
	v_dual_mov_b32 v89, v14 :: v_dual_add_nc_u32 v26, 0x2d8, v85
	v_mad_co_u64_u32 v[14:15], null, s8, v24, 0
	v_mov_b32_e32 v100, v104
	v_lshrrev_b32_e32 v25, 5, v22
	s_delay_alu instid0(VALU_DEP_4) | instskip(SKIP_1) | instid1(VALU_DEP_4)
	v_mad_co_u64_u32 v[18:19], null, s8, v26, 0
	v_lshlrev_b64_e32 v[22:23], 3, v[88:89]
	v_lshlrev_b64_e32 v[12:13], 3, v[99:100]
	s_delay_alu instid0(VALU_DEP_4)
	v_mad_u32_u24 v28, 0x2d8, v25, v87
	v_mad_co_u64_u32 v[24:25], null, s9, v24, v[15:16]
	v_fmamk_f32 v5, v101, 0xbf5db3d7, v1
	v_mad_co_u64_u32 v[25:26], null, s9, v26, v[19:20]
	v_add_co_u32 v12, vcc_lo, v20, v12
	v_mad_co_u64_u32 v[26:27], null, s8, v28, 0
	s_wait_alu 0xfffd
	v_add_co_ci_u32_e32 v13, vcc_lo, v21, v13, vcc_lo
	v_mov_b32_e32 v15, v24
	v_add_co_u32 v22, vcc_lo, v20, v22
	global_store_b64 v[12:13], v[40:41], off
	s_wait_alu 0xfffd
	v_add_co_ci_u32_e32 v23, vcc_lo, v21, v23, vcc_lo
	v_lshlrev_b64_e32 v[13:14], 3, v[14:15]
	v_dual_mov_b32 v19, v25 :: v_dual_mov_b32 v12, v27
	global_store_b64 v[22:23], v[16:17], off
	v_add_nc_u32_e32 v22, 0x16c, v28
	v_add_nc_u32_e32 v23, 0x2d8, v28
	v_lshlrev_b64_e32 v[15:16], 3, v[18:19]
	v_mad_co_u64_u32 v[17:18], null, s9, v28, v[12:13]
	v_lshrrev_b32_e32 v18, 2, v86
	v_add_co_u32 v12, vcc_lo, v20, v13
	s_wait_alu 0xfffd
	v_add_co_ci_u32_e32 v13, vcc_lo, v21, v14, vcc_lo
	s_delay_alu instid0(VALU_DEP_3)
	v_mul_hi_u32 v18, 0x5a05a05b, v18
	v_add_co_u32 v14, vcc_lo, v20, v15
	s_wait_alu 0xfffd
	v_add_co_ci_u32_e32 v15, vcc_lo, v21, v16, vcc_lo
	v_mov_b32_e32 v27, v17
	v_mad_co_u64_u32 v[16:17], null, s8, v22, 0
	v_lshrrev_b32_e32 v18, 5, v18
	s_clause 0x1
	global_store_b64 v[12:13], v[10:11], off
	global_store_b64 v[14:15], v[38:39], off
	v_mad_co_u64_u32 v[12:13], null, s8, v23, 0
	v_mad_u32_u24 v25, 0x2d8, v18, v86
	v_mov_b32_e32 v14, v17
	v_lshlrev_b64_e32 v[10:11], 3, v[26:27]
	v_dual_fmamk_f32 v4, v103, 0x3f5db3d7, v0 :: v_dual_fmac_f32 v1, 0x3f5db3d7, v101
	s_delay_alu instid0(VALU_DEP_4) | instskip(NEXT) | instid1(VALU_DEP_4)
	v_mad_co_u64_u32 v[18:19], null, s8, v25, 0
	v_mad_co_u64_u32 v[14:15], null, s9, v22, v[14:15]
	v_add_nc_u32_e32 v27, 0x16c, v25
	v_add_co_u32 v10, vcc_lo, v20, v10
	v_add_nc_u32_e32 v28, 0x2d8, v25
	s_wait_alu 0xfffd
	v_add_co_ci_u32_e32 v11, vcc_lo, v21, v11, vcc_lo
	v_mad_co_u64_u32 v[22:23], null, s9, v23, v[13:14]
	v_mov_b32_e32 v13, v19
	v_mad_co_u64_u32 v[23:24], null, s8, v27, 0
	v_mov_b32_e32 v17, v14
	global_store_b64 v[10:11], v[8:9], off
	v_mad_co_u64_u32 v[25:26], null, s9, v25, v[13:14]
	v_mad_co_u64_u32 v[14:15], null, s8, v28, 0
	v_lshlrev_b64_e32 v[9:10], 3, v[16:17]
	v_dual_mov_b32 v8, v24 :: v_dual_mov_b32 v13, v22
	s_delay_alu instid0(VALU_DEP_4) | instskip(NEXT) | instid1(VALU_DEP_2)
	v_dual_fmac_f32 v0, 0xbf5db3d7, v103 :: v_dual_mov_b32 v19, v25
	v_mad_co_u64_u32 v[16:17], null, s9, v27, v[8:9]
	v_mov_b32_e32 v8, v15
	v_add_co_u32 v9, vcc_lo, v20, v9
	v_lshlrev_b64_e32 v[11:12], 3, v[12:13]
	v_lshlrev_b64_e32 v[17:18], 3, v[18:19]
	s_wait_alu 0xfffd
	v_add_co_ci_u32_e32 v10, vcc_lo, v21, v10, vcc_lo
	v_mad_co_u64_u32 v[25:26], null, s9, v28, v[8:9]
	v_mov_b32_e32 v24, v16
	v_add_co_u32 v11, vcc_lo, v20, v11
	s_wait_alu 0xfffd
	v_add_co_ci_u32_e32 v12, vcc_lo, v21, v12, vcc_lo
	s_delay_alu instid0(VALU_DEP_3) | instskip(SKIP_4) | instid1(VALU_DEP_3)
	v_lshlrev_b64_e32 v[22:23], 3, v[23:24]
	v_mov_b32_e32 v15, v25
	v_add_co_u32 v16, vcc_lo, v20, v17
	s_wait_alu 0xfffd
	v_add_co_ci_u32_e32 v17, vcc_lo, v21, v18, vcc_lo
	v_lshlrev_b64_e32 v[13:14], 3, v[14:15]
	v_add_co_u32 v18, vcc_lo, v20, v22
	s_wait_alu 0xfffd
	v_add_co_ci_u32_e32 v19, vcc_lo, v21, v23, vcc_lo
	s_delay_alu instid0(VALU_DEP_3)
	v_add_co_u32 v13, vcc_lo, v20, v13
	s_wait_alu 0xfffd
	v_add_co_ci_u32_e32 v14, vcc_lo, v21, v14, vcc_lo
	s_clause 0x4
	global_store_b64 v[9:10], v[6:7], off
	global_store_b64 v[11:12], v[36:37], off
	;; [unrolled: 1-line block ×5, first 2 shown]
.LBB0_37:
	s_nop 0
	s_sendmsg sendmsg(MSG_DEALLOC_VGPRS)
	s_endpgm
	.section	.rodata,"a",@progbits
	.p2align	6, 0x0
	.amdhsa_kernel fft_rtc_back_len1092_factors_2_2_13_7_3_wgs_52_tpt_52_halfLds_sp_ip_CI_sbrr_dirReg
		.amdhsa_group_segment_fixed_size 0
		.amdhsa_private_segment_fixed_size 0
		.amdhsa_kernarg_size 88
		.amdhsa_user_sgpr_count 2
		.amdhsa_user_sgpr_dispatch_ptr 0
		.amdhsa_user_sgpr_queue_ptr 0
		.amdhsa_user_sgpr_kernarg_segment_ptr 1
		.amdhsa_user_sgpr_dispatch_id 0
		.amdhsa_user_sgpr_private_segment_size 0
		.amdhsa_wavefront_size32 1
		.amdhsa_uses_dynamic_stack 0
		.amdhsa_enable_private_segment 0
		.amdhsa_system_sgpr_workgroup_id_x 1
		.amdhsa_system_sgpr_workgroup_id_y 0
		.amdhsa_system_sgpr_workgroup_id_z 0
		.amdhsa_system_sgpr_workgroup_info 0
		.amdhsa_system_vgpr_workitem_id 0
		.amdhsa_next_free_vgpr 159
		.amdhsa_next_free_sgpr 35
		.amdhsa_reserve_vcc 1
		.amdhsa_float_round_mode_32 0
		.amdhsa_float_round_mode_16_64 0
		.amdhsa_float_denorm_mode_32 3
		.amdhsa_float_denorm_mode_16_64 3
		.amdhsa_fp16_overflow 0
		.amdhsa_workgroup_processor_mode 1
		.amdhsa_memory_ordered 1
		.amdhsa_forward_progress 0
		.amdhsa_round_robin_scheduling 0
		.amdhsa_exception_fp_ieee_invalid_op 0
		.amdhsa_exception_fp_denorm_src 0
		.amdhsa_exception_fp_ieee_div_zero 0
		.amdhsa_exception_fp_ieee_overflow 0
		.amdhsa_exception_fp_ieee_underflow 0
		.amdhsa_exception_fp_ieee_inexact 0
		.amdhsa_exception_int_div_zero 0
	.end_amdhsa_kernel
	.text
.Lfunc_end0:
	.size	fft_rtc_back_len1092_factors_2_2_13_7_3_wgs_52_tpt_52_halfLds_sp_ip_CI_sbrr_dirReg, .Lfunc_end0-fft_rtc_back_len1092_factors_2_2_13_7_3_wgs_52_tpt_52_halfLds_sp_ip_CI_sbrr_dirReg
                                        ; -- End function
	.section	.AMDGPU.csdata,"",@progbits
; Kernel info:
; codeLenInByte = 17964
; NumSgprs: 37
; NumVgprs: 159
; ScratchSize: 0
; MemoryBound: 0
; FloatMode: 240
; IeeeMode: 1
; LDSByteSize: 0 bytes/workgroup (compile time only)
; SGPRBlocks: 4
; VGPRBlocks: 19
; NumSGPRsForWavesPerEU: 37
; NumVGPRsForWavesPerEU: 159
; Occupancy: 9
; WaveLimiterHint : 1
; COMPUTE_PGM_RSRC2:SCRATCH_EN: 0
; COMPUTE_PGM_RSRC2:USER_SGPR: 2
; COMPUTE_PGM_RSRC2:TRAP_HANDLER: 0
; COMPUTE_PGM_RSRC2:TGID_X_EN: 1
; COMPUTE_PGM_RSRC2:TGID_Y_EN: 0
; COMPUTE_PGM_RSRC2:TGID_Z_EN: 0
; COMPUTE_PGM_RSRC2:TIDIG_COMP_CNT: 0
	.text
	.p2alignl 7, 3214868480
	.fill 96, 4, 3214868480
	.type	__hip_cuid_d07cf18f76c63c0a,@object ; @__hip_cuid_d07cf18f76c63c0a
	.section	.bss,"aw",@nobits
	.globl	__hip_cuid_d07cf18f76c63c0a
__hip_cuid_d07cf18f76c63c0a:
	.byte	0                               ; 0x0
	.size	__hip_cuid_d07cf18f76c63c0a, 1

	.ident	"AMD clang version 19.0.0git (https://github.com/RadeonOpenCompute/llvm-project roc-6.4.0 25133 c7fe45cf4b819c5991fe208aaa96edf142730f1d)"
	.section	".note.GNU-stack","",@progbits
	.addrsig
	.addrsig_sym __hip_cuid_d07cf18f76c63c0a
	.amdgpu_metadata
---
amdhsa.kernels:
  - .args:
      - .actual_access:  read_only
        .address_space:  global
        .offset:         0
        .size:           8
        .value_kind:     global_buffer
      - .offset:         8
        .size:           8
        .value_kind:     by_value
      - .actual_access:  read_only
        .address_space:  global
        .offset:         16
        .size:           8
        .value_kind:     global_buffer
      - .actual_access:  read_only
        .address_space:  global
        .offset:         24
        .size:           8
        .value_kind:     global_buffer
      - .offset:         32
        .size:           8
        .value_kind:     by_value
      - .actual_access:  read_only
        .address_space:  global
        .offset:         40
        .size:           8
        .value_kind:     global_buffer
      - .actual_access:  read_only
        .address_space:  global
        .offset:         48
        .size:           8
        .value_kind:     global_buffer
      - .offset:         56
        .size:           4
        .value_kind:     by_value
      - .actual_access:  read_only
        .address_space:  global
        .offset:         64
        .size:           8
        .value_kind:     global_buffer
      - .actual_access:  read_only
        .address_space:  global
        .offset:         72
        .size:           8
        .value_kind:     global_buffer
      - .address_space:  global
        .offset:         80
        .size:           8
        .value_kind:     global_buffer
    .group_segment_fixed_size: 0
    .kernarg_segment_align: 8
    .kernarg_segment_size: 88
    .language:       OpenCL C
    .language_version:
      - 2
      - 0
    .max_flat_workgroup_size: 52
    .name:           fft_rtc_back_len1092_factors_2_2_13_7_3_wgs_52_tpt_52_halfLds_sp_ip_CI_sbrr_dirReg
    .private_segment_fixed_size: 0
    .sgpr_count:     37
    .sgpr_spill_count: 0
    .symbol:         fft_rtc_back_len1092_factors_2_2_13_7_3_wgs_52_tpt_52_halfLds_sp_ip_CI_sbrr_dirReg.kd
    .uniform_work_group_size: 1
    .uses_dynamic_stack: false
    .vgpr_count:     159
    .vgpr_spill_count: 0
    .wavefront_size: 32
    .workgroup_processor_mode: 1
amdhsa.target:   amdgcn-amd-amdhsa--gfx1201
amdhsa.version:
  - 1
  - 2
...

	.end_amdgpu_metadata
